;; amdgpu-corpus repo=ROCm/rocFFT kind=compiled arch=gfx906 opt=O3
	.text
	.amdgcn_target "amdgcn-amd-amdhsa--gfx906"
	.amdhsa_code_object_version 6
	.protected	fft_rtc_back_len1400_factors_2_2_2_5_7_5_wgs_56_tpt_56_halfLds_sp_op_CI_CI_sbrr_dirReg ; -- Begin function fft_rtc_back_len1400_factors_2_2_2_5_7_5_wgs_56_tpt_56_halfLds_sp_op_CI_CI_sbrr_dirReg
	.globl	fft_rtc_back_len1400_factors_2_2_2_5_7_5_wgs_56_tpt_56_halfLds_sp_op_CI_CI_sbrr_dirReg
	.p2align	8
	.type	fft_rtc_back_len1400_factors_2_2_2_5_7_5_wgs_56_tpt_56_halfLds_sp_op_CI_CI_sbrr_dirReg,@function
fft_rtc_back_len1400_factors_2_2_2_5_7_5_wgs_56_tpt_56_halfLds_sp_op_CI_CI_sbrr_dirReg: ; @fft_rtc_back_len1400_factors_2_2_2_5_7_5_wgs_56_tpt_56_halfLds_sp_op_CI_CI_sbrr_dirReg
; %bb.0:
	s_load_dwordx4 s[16:19], s[4:5], 0x18
	s_load_dwordx4 s[12:15], s[4:5], 0x0
	;; [unrolled: 1-line block ×3, first 2 shown]
	v_mul_u32_u24_e32 v1, 0x493, v0
	v_mov_b32_e32 v5, 0
	s_waitcnt lgkmcnt(0)
	s_load_dwordx2 s[2:3], s[16:17], 0x0
	s_load_dwordx2 s[20:21], s[18:19], 0x0
	v_cmp_lt_u64_e64 s[0:1], s[14:15], 2
	v_mov_b32_e32 v23, 0
	v_add_u32_sdwa v7, s6, v1 dst_sel:DWORD dst_unused:UNUSED_PAD src0_sel:DWORD src1_sel:WORD_1
	v_mov_b32_e32 v8, v5
	s_and_b64 vcc, exec, s[0:1]
	v_mov_b32_e32 v24, 0
	s_cbranch_vccnz .LBB0_8
; %bb.1:
	s_load_dwordx2 s[0:1], s[4:5], 0x10
	s_add_u32 s6, s18, 8
	s_addc_u32 s7, s19, 0
	s_add_u32 s22, s16, 8
	s_addc_u32 s23, s17, 0
	v_mov_b32_e32 v23, 0
	s_waitcnt lgkmcnt(0)
	s_add_u32 s24, s0, 8
	v_mov_b32_e32 v24, 0
	v_mov_b32_e32 v1, v23
	s_addc_u32 s25, s1, 0
	s_mov_b64 s[26:27], 1
	v_mov_b32_e32 v2, v24
.LBB0_2:                                ; =>This Inner Loop Header: Depth=1
	s_load_dwordx2 s[28:29], s[24:25], 0x0
                                        ; implicit-def: $vgpr3_vgpr4
	s_waitcnt lgkmcnt(0)
	v_or_b32_e32 v6, s29, v8
	v_cmp_ne_u64_e32 vcc, 0, v[5:6]
	s_and_saveexec_b64 s[0:1], vcc
	s_xor_b64 s[30:31], exec, s[0:1]
	s_cbranch_execz .LBB0_4
; %bb.3:                                ;   in Loop: Header=BB0_2 Depth=1
	v_cvt_f32_u32_e32 v3, s28
	v_cvt_f32_u32_e32 v4, s29
	s_sub_u32 s0, 0, s28
	s_subb_u32 s1, 0, s29
	v_mac_f32_e32 v3, 0x4f800000, v4
	v_rcp_f32_e32 v3, v3
	v_mul_f32_e32 v3, 0x5f7ffffc, v3
	v_mul_f32_e32 v4, 0x2f800000, v3
	v_trunc_f32_e32 v4, v4
	v_mac_f32_e32 v3, 0xcf800000, v4
	v_cvt_u32_f32_e32 v4, v4
	v_cvt_u32_f32_e32 v3, v3
	v_mul_lo_u32 v6, s0, v4
	v_mul_hi_u32 v9, s0, v3
	v_mul_lo_u32 v11, s1, v3
	v_mul_lo_u32 v10, s0, v3
	v_add_u32_e32 v6, v9, v6
	v_add_u32_e32 v6, v6, v11
	v_mul_hi_u32 v9, v3, v10
	v_mul_lo_u32 v11, v3, v6
	v_mul_hi_u32 v13, v3, v6
	v_mul_hi_u32 v12, v4, v10
	v_mul_lo_u32 v10, v4, v10
	v_mul_hi_u32 v14, v4, v6
	v_add_co_u32_e32 v9, vcc, v9, v11
	v_addc_co_u32_e32 v11, vcc, 0, v13, vcc
	v_mul_lo_u32 v6, v4, v6
	v_add_co_u32_e32 v9, vcc, v9, v10
	v_addc_co_u32_e32 v9, vcc, v11, v12, vcc
	v_addc_co_u32_e32 v10, vcc, 0, v14, vcc
	v_add_co_u32_e32 v6, vcc, v9, v6
	v_addc_co_u32_e32 v9, vcc, 0, v10, vcc
	v_add_co_u32_e32 v3, vcc, v3, v6
	v_addc_co_u32_e32 v4, vcc, v4, v9, vcc
	v_mul_lo_u32 v6, s0, v4
	v_mul_hi_u32 v9, s0, v3
	v_mul_lo_u32 v10, s1, v3
	v_mul_lo_u32 v11, s0, v3
	v_add_u32_e32 v6, v9, v6
	v_add_u32_e32 v6, v6, v10
	v_mul_lo_u32 v12, v3, v6
	v_mul_hi_u32 v13, v3, v11
	v_mul_hi_u32 v14, v3, v6
	;; [unrolled: 1-line block ×3, first 2 shown]
	v_mul_lo_u32 v11, v4, v11
	v_mul_hi_u32 v9, v4, v6
	v_add_co_u32_e32 v12, vcc, v13, v12
	v_addc_co_u32_e32 v13, vcc, 0, v14, vcc
	v_mul_lo_u32 v6, v4, v6
	v_add_co_u32_e32 v11, vcc, v12, v11
	v_addc_co_u32_e32 v10, vcc, v13, v10, vcc
	v_addc_co_u32_e32 v9, vcc, 0, v9, vcc
	v_add_co_u32_e32 v6, vcc, v10, v6
	v_addc_co_u32_e32 v9, vcc, 0, v9, vcc
	v_add_co_u32_e32 v6, vcc, v3, v6
	v_addc_co_u32_e32 v9, vcc, v4, v9, vcc
	v_mad_u64_u32 v[3:4], s[0:1], v7, v9, 0
	v_mul_hi_u32 v10, v7, v6
	v_add_co_u32_e32 v11, vcc, v10, v3
	v_addc_co_u32_e32 v12, vcc, 0, v4, vcc
	v_mad_u64_u32 v[3:4], s[0:1], v8, v6, 0
	v_mad_u64_u32 v[9:10], s[0:1], v8, v9, 0
	v_add_co_u32_e32 v3, vcc, v11, v3
	v_addc_co_u32_e32 v3, vcc, v12, v4, vcc
	v_addc_co_u32_e32 v4, vcc, 0, v10, vcc
	v_add_co_u32_e32 v6, vcc, v3, v9
	v_addc_co_u32_e32 v9, vcc, 0, v4, vcc
	v_mul_lo_u32 v10, s29, v6
	v_mul_lo_u32 v11, s28, v9
	v_mad_u64_u32 v[3:4], s[0:1], s28, v6, 0
	v_add3_u32 v4, v4, v11, v10
	v_sub_u32_e32 v10, v8, v4
	v_mov_b32_e32 v11, s29
	v_sub_co_u32_e32 v3, vcc, v7, v3
	v_subb_co_u32_e64 v10, s[0:1], v10, v11, vcc
	v_subrev_co_u32_e64 v11, s[0:1], s28, v3
	v_subbrev_co_u32_e64 v10, s[0:1], 0, v10, s[0:1]
	v_cmp_le_u32_e64 s[0:1], s29, v10
	v_cndmask_b32_e64 v12, 0, -1, s[0:1]
	v_cmp_le_u32_e64 s[0:1], s28, v11
	v_cndmask_b32_e64 v11, 0, -1, s[0:1]
	v_cmp_eq_u32_e64 s[0:1], s29, v10
	v_cndmask_b32_e64 v10, v12, v11, s[0:1]
	v_add_co_u32_e64 v11, s[0:1], 2, v6
	v_addc_co_u32_e64 v12, s[0:1], 0, v9, s[0:1]
	v_add_co_u32_e64 v13, s[0:1], 1, v6
	v_addc_co_u32_e64 v14, s[0:1], 0, v9, s[0:1]
	v_subb_co_u32_e32 v4, vcc, v8, v4, vcc
	v_cmp_ne_u32_e64 s[0:1], 0, v10
	v_cmp_le_u32_e32 vcc, s29, v4
	v_cndmask_b32_e64 v10, v14, v12, s[0:1]
	v_cndmask_b32_e64 v12, 0, -1, vcc
	v_cmp_le_u32_e32 vcc, s28, v3
	v_cndmask_b32_e64 v3, 0, -1, vcc
	v_cmp_eq_u32_e32 vcc, s29, v4
	v_cndmask_b32_e32 v3, v12, v3, vcc
	v_cmp_ne_u32_e32 vcc, 0, v3
	v_cndmask_b32_e64 v3, v13, v11, s[0:1]
	v_cndmask_b32_e32 v4, v9, v10, vcc
	v_cndmask_b32_e32 v3, v6, v3, vcc
.LBB0_4:                                ;   in Loop: Header=BB0_2 Depth=1
	s_andn2_saveexec_b64 s[0:1], s[30:31]
	s_cbranch_execz .LBB0_6
; %bb.5:                                ;   in Loop: Header=BB0_2 Depth=1
	v_cvt_f32_u32_e32 v3, s28
	s_sub_i32 s30, 0, s28
	v_rcp_iflag_f32_e32 v3, v3
	v_mul_f32_e32 v3, 0x4f7ffffe, v3
	v_cvt_u32_f32_e32 v3, v3
	v_mul_lo_u32 v4, s30, v3
	v_mul_hi_u32 v4, v3, v4
	v_add_u32_e32 v3, v3, v4
	v_mul_hi_u32 v3, v7, v3
	v_mul_lo_u32 v4, v3, s28
	v_add_u32_e32 v6, 1, v3
	v_sub_u32_e32 v4, v7, v4
	v_subrev_u32_e32 v9, s28, v4
	v_cmp_le_u32_e32 vcc, s28, v4
	v_cndmask_b32_e32 v4, v4, v9, vcc
	v_cndmask_b32_e32 v3, v3, v6, vcc
	v_add_u32_e32 v6, 1, v3
	v_cmp_le_u32_e32 vcc, s28, v4
	v_cndmask_b32_e32 v3, v3, v6, vcc
	v_mov_b32_e32 v4, v5
.LBB0_6:                                ;   in Loop: Header=BB0_2 Depth=1
	s_or_b64 exec, exec, s[0:1]
	v_mul_lo_u32 v6, v4, s28
	v_mul_lo_u32 v11, v3, s29
	v_mad_u64_u32 v[9:10], s[0:1], v3, s28, 0
	s_load_dwordx2 s[0:1], s[22:23], 0x0
	s_load_dwordx2 s[28:29], s[6:7], 0x0
	v_add3_u32 v6, v10, v11, v6
	v_sub_co_u32_e32 v7, vcc, v7, v9
	v_subb_co_u32_e32 v6, vcc, v8, v6, vcc
	s_waitcnt lgkmcnt(0)
	v_mul_lo_u32 v8, s0, v6
	v_mul_lo_u32 v9, s1, v7
	v_mad_u64_u32 v[23:24], s[0:1], s0, v7, v[23:24]
	v_mul_lo_u32 v6, s28, v6
	v_mul_lo_u32 v10, s29, v7
	v_mad_u64_u32 v[1:2], s[0:1], s28, v7, v[1:2]
	s_add_u32 s26, s26, 1
	s_addc_u32 s27, s27, 0
	s_add_u32 s6, s6, 8
	v_add3_u32 v2, v10, v2, v6
	s_addc_u32 s7, s7, 0
	v_mov_b32_e32 v6, s14
	s_add_u32 s22, s22, 8
	v_mov_b32_e32 v7, s15
	s_addc_u32 s23, s23, 0
	v_cmp_ge_u64_e32 vcc, s[26:27], v[6:7]
	s_add_u32 s24, s24, 8
	v_add3_u32 v24, v9, v24, v8
	s_addc_u32 s25, s25, 0
	s_cbranch_vccnz .LBB0_9
; %bb.7:                                ;   in Loop: Header=BB0_2 Depth=1
	v_mov_b32_e32 v8, v4
	v_mov_b32_e32 v7, v3
	s_branch .LBB0_2
.LBB0_8:
	v_mov_b32_e32 v1, v23
	v_mov_b32_e32 v3, v7
	;; [unrolled: 1-line block ×4, first 2 shown]
.LBB0_9:
	s_load_dwordx2 s[0:1], s[4:5], 0x28
	s_lshl_b64 s[14:15], s[14:15], 3
	s_add_u32 s4, s18, s14
	s_addc_u32 s5, s19, s15
                                        ; implicit-def: $sgpr18
                                        ; implicit-def: $vgpr67
                                        ; implicit-def: $vgpr68
                                        ; implicit-def: $vgpr69
                                        ; implicit-def: $vgpr70
                                        ; implicit-def: $vgpr71
                                        ; implicit-def: $vgpr72
                                        ; implicit-def: $vgpr73
                                        ; implicit-def: $vgpr75
                                        ; implicit-def: $vgpr74
                                        ; implicit-def: $vgpr76
                                        ; implicit-def: $vgpr77
                                        ; implicit-def: $vgpr78
	s_waitcnt lgkmcnt(0)
	v_cmp_gt_u64_e32 vcc, s[0:1], v[3:4]
	v_cmp_le_u64_e64 s[0:1], s[0:1], v[3:4]
	s_and_saveexec_b64 s[6:7], s[0:1]
	s_xor_b64 s[0:1], exec, s[6:7]
	s_cbranch_execz .LBB0_11
; %bb.10:
	s_mov_b32 s6, 0x4924925
	v_mul_hi_u32 v5, v0, s6
	s_mov_b32 s18, 0
                                        ; implicit-def: $vgpr23_vgpr24
	v_mul_u32_u24_e32 v5, 56, v5
	v_sub_u32_e32 v67, v0, v5
	v_add_u32_e32 v68, 56, v67
	v_add_u32_e32 v69, 0x70, v67
	;; [unrolled: 1-line block ×7, first 2 shown]
	v_or_b32_e32 v74, 0x1c0, v67
	v_add_u32_e32 v76, 0x1f8, v67
	v_add_u32_e32 v77, 0x230, v67
	;; [unrolled: 1-line block ×3, first 2 shown]
                                        ; implicit-def: $vgpr0
.LBB0_11:
	s_or_saveexec_b64 s[6:7], s[0:1]
	s_load_dwordx2 s[4:5], s[4:5], 0x0
	v_mov_b32_e32 v26, s18
	v_mov_b32_e32 v25, s18
                                        ; implicit-def: $vgpr6
                                        ; implicit-def: $vgpr8
                                        ; implicit-def: $vgpr10
                                        ; implicit-def: $vgpr12
                                        ; implicit-def: $vgpr14
                                        ; implicit-def: $vgpr16
                                        ; implicit-def: $vgpr18
                                        ; implicit-def: $vgpr20
                                        ; implicit-def: $vgpr22
                                        ; implicit-def: $vgpr30
                                        ; implicit-def: $vgpr28
                                        ; implicit-def: $vgpr32
                                        ; implicit-def: $vgpr48
                                        ; implicit-def: $vgpr46
                                        ; implicit-def: $vgpr50
                                        ; implicit-def: $vgpr52
                                        ; implicit-def: $vgpr56
                                        ; implicit-def: $vgpr54
                                        ; implicit-def: $vgpr61
                                        ; implicit-def: $vgpr66
                                        ; implicit-def: $vgpr59
                                        ; implicit-def: $vgpr63
                                        ; implicit-def: $vgpr39
                                        ; implicit-def: $vgpr42
                                        ; implicit-def: $vgpr44
	s_xor_b64 exec, exec, s[6:7]
	s_cbranch_execz .LBB0_15
; %bb.12:
	s_add_u32 s0, s16, s14
	s_mov_b32 s14, 0x4924925
	v_mul_hi_u32 v5, v0, s14
	s_addc_u32 s1, s17, s15
	s_load_dwordx2 s[0:1], s[0:1], 0x0
	v_mov_b32_e32 v26, 0
	v_mul_u32_u24_e32 v5, 56, v5
	v_sub_u32_e32 v67, v0, v5
	v_mad_u64_u32 v[5:6], s[14:15], s2, v67, 0
	s_waitcnt lgkmcnt(0)
	v_mul_lo_u32 v11, s1, v3
	v_mul_lo_u32 v12, s0, v4
	v_mad_u64_u32 v[7:8], s[0:1], s0, v3, 0
	v_mov_b32_e32 v0, v6
	v_mad_u64_u32 v[9:10], s[0:1], s3, v67, v[0:1]
	v_add3_u32 v8, v8, v12, v11
	v_lshlrev_b64 v[7:8], 3, v[7:8]
	v_mov_b32_e32 v0, s9
	v_add_co_u32_e64 v11, s[0:1], s8, v7
	v_add_u32_e32 v13, 0x2bc, v67
	v_mov_b32_e32 v6, v9
	v_addc_co_u32_e64 v12, s[0:1], v0, v8, s[0:1]
	v_mad_u64_u32 v[9:10], s[0:1], s2, v13, 0
	v_lshlrev_b64 v[7:8], 3, v[23:24]
	v_add_u32_e32 v68, 56, v67
	v_add_co_u32_e64 v0, s[0:1], v11, v7
	v_mov_b32_e32 v7, v10
	v_addc_co_u32_e64 v23, s[0:1], v12, v8, s[0:1]
	v_mad_u64_u32 v[7:8], s[0:1], s3, v13, v[7:8]
	v_mad_u64_u32 v[11:12], s[0:1], s2, v68, 0
	v_lshlrev_b64 v[5:6], 3, v[5:6]
	v_mov_b32_e32 v10, v7
	v_add_co_u32_e64 v24, s[0:1], v0, v5
	v_mov_b32_e32 v7, v12
	v_addc_co_u32_e64 v25, s[0:1], v23, v6, s[0:1]
	v_lshlrev_b64 v[5:6], 3, v[9:10]
	v_mad_u64_u32 v[7:8], s[0:1], s3, v68, v[7:8]
	v_add_u32_e32 v10, 0x2f4, v67
	v_mad_u64_u32 v[8:9], s[0:1], s2, v10, 0
	v_add_co_u32_e64 v33, s[0:1], v0, v5
	v_mov_b32_e32 v12, v7
	v_mov_b32_e32 v7, v9
	v_addc_co_u32_e64 v34, s[0:1], v23, v6, s[0:1]
	v_mad_u64_u32 v[9:10], s[0:1], s3, v10, v[7:8]
	v_add_u32_e32 v69, 0x70, v67
	v_lshlrev_b64 v[5:6], 3, v[11:12]
	v_mad_u64_u32 v[10:11], s[0:1], s2, v69, 0
	v_add_co_u32_e64 v35, s[0:1], v0, v5
	v_mov_b32_e32 v7, v11
	v_addc_co_u32_e64 v36, s[0:1], v23, v6, s[0:1]
	v_lshlrev_b64 v[5:6], 3, v[8:9]
	v_mad_u64_u32 v[7:8], s[0:1], s3, v69, v[7:8]
	v_add_u32_e32 v12, 0x32c, v67
	v_mad_u64_u32 v[8:9], s[0:1], s2, v12, 0
	v_add_co_u32_e64 v45, s[0:1], v0, v5
	v_mov_b32_e32 v11, v7
	v_mov_b32_e32 v7, v9
	v_addc_co_u32_e64 v46, s[0:1], v23, v6, s[0:1]
	v_lshlrev_b64 v[5:6], 3, v[10:11]
	v_mad_u64_u32 v[9:10], s[0:1], s3, v12, v[7:8]
	v_add_u32_e32 v70, 0xa8, v67
	v_mad_u64_u32 v[10:11], s[0:1], s2, v70, 0
	v_add_co_u32_e64 v47, s[0:1], v0, v5
	v_mov_b32_e32 v7, v11
	v_addc_co_u32_e64 v48, s[0:1], v23, v6, s[0:1]
	v_lshlrev_b64 v[5:6], 3, v[8:9]
	v_mad_u64_u32 v[7:8], s[0:1], s3, v70, v[7:8]
	v_add_u32_e32 v12, 0x364, v67
	v_mad_u64_u32 v[8:9], s[0:1], s2, v12, 0
	v_add_co_u32_e64 v49, s[0:1], v0, v5
	v_mov_b32_e32 v11, v7
	v_mov_b32_e32 v7, v9
	v_addc_co_u32_e64 v50, s[0:1], v23, v6, s[0:1]
	v_lshlrev_b64 v[5:6], 3, v[10:11]
	v_mad_u64_u32 v[9:10], s[0:1], s3, v12, v[7:8]
	v_add_u32_e32 v71, 0xe0, v67
	;; [unrolled: 15-line block ×5, first 2 shown]
	v_mad_u64_u32 v[10:11], s[0:1], s2, v75, 0
	v_add_co_u32_e64 v63, s[0:1], v0, v5
	v_mov_b32_e32 v7, v11
	v_addc_co_u32_e64 v64, s[0:1], v23, v6, s[0:1]
	v_lshlrev_b64 v[5:6], 3, v[8:9]
	v_mad_u64_u32 v[7:8], s[0:1], s3, v75, v[7:8]
	v_add_u32_e32 v12, 0x444, v67
	v_mad_u64_u32 v[8:9], s[0:1], s2, v12, 0
	v_add_co_u32_e64 v65, s[0:1], v0, v5
	v_mov_b32_e32 v11, v7
	v_mov_b32_e32 v7, v9
	v_addc_co_u32_e64 v66, s[0:1], v23, v6, s[0:1]
	v_lshlrev_b64 v[5:6], 3, v[10:11]
	v_mad_u64_u32 v[9:10], s[0:1], s3, v12, v[7:8]
	v_or_b32_e32 v74, 0x1c0, v67
	v_mad_u64_u32 v[10:11], s[0:1], s2, v74, 0
	v_add_co_u32_e64 v79, s[0:1], v0, v5
	v_mov_b32_e32 v7, v11
	v_addc_co_u32_e64 v80, s[0:1], v23, v6, s[0:1]
	v_lshlrev_b64 v[5:6], 3, v[8:9]
	v_mad_u64_u32 v[7:8], s[0:1], s3, v74, v[7:8]
	v_add_u32_e32 v12, 0x47c, v67
	v_mad_u64_u32 v[8:9], s[0:1], s2, v12, 0
	v_add_co_u32_e64 v81, s[0:1], v0, v5
	v_mov_b32_e32 v11, v7
	v_mov_b32_e32 v7, v9
	v_addc_co_u32_e64 v82, s[0:1], v23, v6, s[0:1]
	v_lshlrev_b64 v[5:6], 3, v[10:11]
	v_mad_u64_u32 v[9:10], s[0:1], s3, v12, v[7:8]
	v_add_u32_e32 v76, 0x1f8, v67
	v_mad_u64_u32 v[10:11], s[0:1], s2, v76, 0
	v_add_co_u32_e64 v83, s[0:1], v0, v5
	v_mov_b32_e32 v7, v11
	v_addc_co_u32_e64 v84, s[0:1], v23, v6, s[0:1]
	v_lshlrev_b64 v[5:6], 3, v[8:9]
	v_mad_u64_u32 v[7:8], s[0:1], s3, v76, v[7:8]
	v_add_u32_e32 v12, 0x4b4, v67
	v_mad_u64_u32 v[8:9], s[0:1], s2, v12, 0
	v_add_co_u32_e64 v85, s[0:1], v0, v5
	v_mov_b32_e32 v11, v7
	v_mov_b32_e32 v7, v9
	v_addc_co_u32_e64 v86, s[0:1], v23, v6, s[0:1]
	v_lshlrev_b64 v[5:6], 3, v[10:11]
	v_mad_u64_u32 v[9:10], s[0:1], s3, v12, v[7:8]
	v_add_u32_e32 v77, 0x230, v67
	;; [unrolled: 15-line block ×3, first 2 shown]
	v_mad_u64_u32 v[10:11], s[0:1], s2, v78, 0
	v_add_co_u32_e64 v91, s[0:1], v0, v5
	v_mov_b32_e32 v7, v11
	v_addc_co_u32_e64 v92, s[0:1], v23, v6, s[0:1]
	v_lshlrev_b64 v[5:6], 3, v[8:9]
	v_mad_u64_u32 v[7:8], s[0:1], s3, v78, v[7:8]
	v_add_u32_e32 v12, 0x524, v67
	v_mad_u64_u32 v[8:9], s[0:1], s2, v12, 0
	v_add_co_u32_e64 v93, s[0:1], v0, v5
	v_mov_b32_e32 v11, v7
	v_mov_b32_e32 v7, v9
	v_addc_co_u32_e64 v94, s[0:1], v23, v6, s[0:1]
	v_lshlrev_b64 v[5:6], 3, v[10:11]
	v_mad_u64_u32 v[9:10], s[0:1], s3, v12, v[7:8]
	v_add_co_u32_e64 v95, s[0:1], v0, v5
	v_addc_co_u32_e64 v96, s[0:1], v23, v6, s[0:1]
	v_lshlrev_b64 v[5:6], 3, v[8:9]
	v_add_co_u32_e64 v97, s[0:1], v0, v5
	v_addc_co_u32_e64 v98, s[0:1], v23, v6, s[0:1]
	global_load_dwordx2 v[5:6], v[24:25], off
	global_load_dwordx2 v[7:8], v[33:34], off
	;; [unrolled: 1-line block ×15, first 2 shown]
                                        ; kill: killed $vgpr33 killed $vgpr34
                                        ; kill: killed $vgpr55 killed $vgpr56
                                        ; kill: killed $vgpr49 killed $vgpr50
                                        ; kill: killed $vgpr65 killed $vgpr66
                                        ; kill: killed $vgpr51 killed $vgpr52
                                        ; kill: killed $vgpr79 killed $vgpr80
                                        ; kill: killed $vgpr45 killed $vgpr46
                                        ; kill: killed $vgpr61 killed $vgpr62
                                        ; kill: killed $vgpr24 killed $vgpr25
                                        ; kill: killed $vgpr47 killed $vgpr48
                                        ; kill: killed $vgpr63 killed $vgpr64
                                        ; kill: killed $vgpr57 killed $vgpr58
                                        ; kill: killed $vgpr35 killed $vgpr36
                                        ; kill: killed $vgpr59 killed $vgpr60
                                        ; kill: killed $vgpr53 killed $vgpr54
	global_load_dwordx2 v[47:48], v[81:82], off
	global_load_dwordx2 v[45:46], v[83:84], off
	s_nop 0
	global_load_dwordx2 v[62:63], v[85:86], off
	global_load_dwordx2 v[49:50], v[87:88], off
	;; [unrolled: 1-line block ×7, first 2 shown]
	v_cmp_gt_u32_e64 s[0:1], 28, v67
	v_mov_b32_e32 v25, 0
                                        ; implicit-def: $vgpr65
	s_and_saveexec_b64 s[8:9], s[0:1]
	s_cbranch_execz .LBB0_14
; %bb.13:
	v_or_b32_e32 v26, 0x2a0, v67
	v_mad_u64_u32 v[24:25], s[0:1], s2, v26, 0
	v_add_u32_e32 v35, 0x55c, v67
	v_mad_u64_u32 v[33:34], s[0:1], s2, v35, 0
	v_mad_u64_u32 v[25:26], s[0:1], s3, v26, v[25:26]
	v_mov_b32_e32 v26, v34
	s_waitcnt vmcnt(11)
	v_mad_u64_u32 v[34:35], s[0:1], s3, v35, v[26:27]
	v_lshlrev_b64 v[24:25], 3, v[24:25]
	v_add_co_u32_e64 v35, s[0:1], v0, v24
	v_addc_co_u32_e64 v36, s[0:1], v23, v25, s[0:1]
	v_lshlrev_b64 v[24:25], 3, v[33:34]
	v_add_co_u32_e64 v33, s[0:1], v0, v24
	v_addc_co_u32_e64 v34, s[0:1], v23, v25, s[0:1]
	global_load_dwordx2 v[25:26], v[35:36], off
	global_load_dwordx2 v[65:66], v[33:34], off
.LBB0_14:
	s_or_b64 exec, exec, s[8:9]
.LBB0_15:
	s_or_b64 exec, exec, s[6:7]
	s_waitcnt vmcnt(22)
	v_sub_f32_e32 v24, v5, v7
	s_waitcnt vmcnt(20)
	v_sub_f32_e32 v34, v9, v43
	;; [unrolled: 2-line block ×3, first 2 shown]
	v_fma_f32 v23, v5, 2.0, -v24
	v_fma_f32 v33, v9, 2.0, -v34
	v_sub_f32_e32 v82, v17, v19
	v_fma_f32 v83, v21, 2.0, -v84
	v_lshl_add_u32 v19, v67, 3, 0
	v_lshl_add_u32 v21, v68, 3, 0
	v_sub_f32_e32 v36, v11, v41
	v_sub_f32_e32 v41, v13, v15
	s_waitcnt vmcnt(10)
	v_sub_f32_e32 v38, v27, v38
	ds_write_b64 v19, v[23:24]
	s_waitcnt vmcnt(8)
	v_sub_f32_e32 v24, v31, v47
	ds_write_b64 v21, v[33:34]
	s_waitcnt vmcnt(6)
	v_sub_f32_e32 v34, v45, v62
	v_fma_f32 v35, v11, 2.0, -v36
	v_fma_f32 v40, v13, 2.0, -v41
	;; [unrolled: 1-line block ×5, first 2 shown]
	v_lshl_add_u32 v47, v69, 3, 0
	v_fma_f32 v33, v45, 2.0, -v34
	v_lshl_add_u32 v79, v70, 3, 0
	v_lshl_add_u32 v80, v71, 3, 0
	;; [unrolled: 1-line block ×6, first 2 shown]
	ds_write_b64 v47, v[35:36]
	ds_write_b64 v79, v[40:41]
	;; [unrolled: 1-line block ×3, first 2 shown]
	s_waitcnt vmcnt(4)
	v_sub_f32_e32 v36, v49, v58
	ds_write_b64 v27, v[83:84]
	ds_write_b64 v31, v[37:38]
	s_waitcnt vmcnt(2)
	v_sub_f32_e32 v38, v51, v55
	ds_write_b64 v45, v[23:24]
	ds_write_b64 v29, v[33:34]
	s_waitcnt vmcnt(0)
	v_sub_f32_e32 v34, v53, v60
	v_sub_f32_e32 v24, v25, v65
	v_add_u32_e32 v7, 0x2a0, v67
	v_fma_f32 v35, v49, 2.0, -v36
	v_fma_f32 v37, v51, 2.0, -v38
	;; [unrolled: 1-line block ×3, first 2 shown]
	v_lshl_add_u32 v43, v76, 3, 0
	v_lshl_add_u32 v81, v77, 3, 0
	v_fma_f32 v23, v25, 2.0, -v24
	v_lshl_add_u32 v96, v78, 3, 0
	v_cmp_gt_u32_e64 s[0:1], 28, v67
	v_lshl_add_u32 v25, v7, 3, 0
	ds_write_b64 v43, v[35:36]
	ds_write_b64 v81, v[37:38]
	;; [unrolled: 1-line block ×3, first 2 shown]
	s_and_saveexec_b64 s[2:3], s[0:1]
	s_cbranch_execz .LBB0_17
; %bb.16:
	ds_write_b64 v25, v[23:24]
.LBB0_17:
	s_or_b64 exec, exec, s[2:3]
	v_lshl_add_u32 v0, v67, 2, 0
	v_add_u32_e32 v5, 0x800, v0
	s_waitcnt lgkmcnt(0)
	; wave barrier
	s_waitcnt lgkmcnt(0)
	ds_read2_b32 v[33:34], v5 offset0:188 offset1:244
	v_add_u32_e32 v5, 0xc00, v0
	ds_read2_b32 v[35:36], v5 offset0:44 offset1:100
	ds_read2_b32 v[37:38], v5 offset0:156 offset1:212
	v_lshlrev_b32_e32 v5, 2, v72
	v_lshlrev_b32_e32 v49, 2, v73
	v_add_u32_e32 v64, 0x1000, v0
	v_lshlrev_b32_e32 v51, 2, v75
	v_lshl_add_u32 v53, v68, 2, 0
	v_lshl_add_u32 v55, v69, 2, 0
	;; [unrolled: 1-line block ×4, first 2 shown]
	v_sub_u32_e32 v57, v27, v5
	v_sub_u32_e32 v58, v31, v49
	ds_read2_b32 v[40:41], v64 offset0:12 offset1:68
	v_sub_u32_e32 v65, v45, v51
	ds_read_b32 v9, v0
	ds_read_b32 v11, v53
	;; [unrolled: 1-line block ×8, first 2 shown]
	v_lshlrev_b32_e32 v92, 2, v74
	v_lshlrev_b32_e32 v93, 2, v76
	;; [unrolled: 1-line block ×4, first 2 shown]
	v_sub_u32_e32 v85, v29, v92
	ds_read2_b32 v[57:58], v64 offset0:124 offset1:180
	v_sub_u32_e32 v86, v43, v93
	v_sub_u32_e32 v87, v81, v94
	v_add_u32_e32 v64, 0x1200, v0
	v_sub_u32_e32 v88, v96, v95
	ds_read2_b32 v[64:65], v64 offset0:108 offset1:164
	ds_read_b32 v85, v85
	ds_read_b32 v86, v86
	;; [unrolled: 1-line block ×4, first 2 shown]
	s_and_saveexec_b64 s[2:3], s[0:1]
	s_cbranch_execz .LBB0_19
; %bb.18:
	ds_read_b32 v23, v0 offset:2688
	ds_read_b32 v24, v0 offset:5488
.LBB0_19:
	s_or_b64 exec, exec, s[2:3]
	v_sub_u32_e32 v100, 0, v93
	v_sub_f32_e32 v93, v6, v8
	v_sub_u32_e32 v101, 0, v92
	v_fma_f32 v92, v6, 2.0, -v93
	v_sub_f32_e32 v6, v26, v66
	v_sub_u32_e32 v91, 0, v5
	v_sub_u32_e32 v90, 0, v49
	;; [unrolled: 1-line block ×5, first 2 shown]
	v_sub_f32_e32 v95, v10, v44
	v_sub_f32_e32 v103, v12, v42
	;; [unrolled: 1-line block ×11, first 2 shown]
	v_fma_f32 v5, v26, 2.0, -v6
	v_fma_f32 v94, v10, 2.0, -v95
	;; [unrolled: 1-line block ×12, first 2 shown]
	s_waitcnt lgkmcnt(0)
	; wave barrier
	s_waitcnt lgkmcnt(0)
	ds_write_b64 v19, v[92:93]
	ds_write_b64 v21, v[94:95]
	;; [unrolled: 1-line block ×12, first 2 shown]
	s_and_saveexec_b64 s[2:3], s[0:1]
	s_cbranch_execz .LBB0_21
; %bb.20:
	ds_write_b64 v25, v[5:6]
.LBB0_21:
	s_or_b64 exec, exec, s[2:3]
	v_add_u32_e32 v8, 0x800, v0
	s_waitcnt lgkmcnt(0)
	; wave barrier
	s_waitcnt lgkmcnt(0)
	ds_read2_b32 v[21:22], v8 offset0:188 offset1:244
	v_add_u32_e32 v8, 0xc00, v0
	ds_read2_b32 v[25:26], v8 offset0:44 offset1:100
	ds_read2_b32 v[19:20], v8 offset0:156 offset1:212
	v_add_u32_e32 v8, 0x1000, v0
	v_lshlrev_b32_e32 v47, 1, v73
	v_lshlrev_b32_e32 v46, 1, v75
	v_add_u32_e32 v54, v27, v91
	v_add_u32_e32 v73, v31, v90
	ds_read2_b32 v[27:28], v8 offset0:12 offset1:68
	v_add_u32_e32 v75, v45, v89
	ds_read_b32 v97, v0
	ds_read_b32 v95, v53
	;; [unrolled: 1-line block ×8, first 2 shown]
	v_add_u32_e32 v79, v29, v101
	ds_read2_b32 v[29:30], v8 offset0:124 offset1:180
	v_add_u32_e32 v8, 0x1200, v0
	v_add_u32_e32 v80, v43, v100
	;; [unrolled: 1-line block ×3, first 2 shown]
	ds_read2_b32 v[31:32], v8 offset0:108 offset1:164
	v_add_u32_e32 v81, v96, v98
	ds_read_b32 v100, v79
	ds_read_b32 v99, v80
	;; [unrolled: 1-line block ×4, first 2 shown]
	v_lshlrev_b32_e32 v48, 1, v67
	v_lshlrev_b32_e32 v49, 1, v68
	;; [unrolled: 1-line block ×10, first 2 shown]
	s_and_saveexec_b64 s[2:3], s[0:1]
	s_cbranch_execz .LBB0_23
; %bb.22:
	ds_read_b32 v5, v0 offset:2688
	ds_read_b32 v6, v0 offset:5488
.LBB0_23:
	s_or_b64 exec, exec, s[2:3]
	v_and_b32_e32 v74, 1, v67
	v_lshlrev_b32_e32 v8, 3, v74
	global_load_dwordx2 v[42:43], v8, s[12:13]
	s_movk_i32 s2, 0x7c
	s_movk_i32 s3, 0xfc
	;; [unrolled: 1-line block ×5, first 2 shown]
	v_and_or_b32 v8, v48, s2, v74
	v_and_or_b32 v10, v49, s3, v74
	;; [unrolled: 1-line block ×8, first 2 shown]
	v_lshl_add_u32 v103, v8, 2, 0
	v_lshl_add_u32 v104, v10, 2, 0
	;; [unrolled: 1-line block ×8, first 2 shown]
	s_movk_i32 s2, 0x7fc
	v_and_or_b32 v76, v61, s7, v74
	s_waitcnt lgkmcnt(0)
	; wave barrier
	s_waitcnt vmcnt(0) lgkmcnt(0)
	v_mul_f32_e32 v8, v21, v43
	v_mul_f32_e32 v10, v22, v43
	;; [unrolled: 1-line block ×8, first 2 shown]
	v_fmac_f32_e32 v8, v33, v42
	v_mul_f32_e32 v72, v29, v43
	v_mul_f32_e32 v102, v6, v43
	v_fmac_f32_e32 v10, v34, v42
	v_fmac_f32_e32 v12, v35, v42
	;; [unrolled: 1-line block ×7, first 2 shown]
	v_sub_f32_e32 v8, v9, v8
	v_fmac_f32_e32 v72, v57, v42
	v_fmac_f32_e32 v102, v24, v42
	v_sub_f32_e32 v10, v11, v10
	v_sub_f32_e32 v12, v13, v12
	;; [unrolled: 1-line block ×7, first 2 shown]
	v_fma_f32 v9, v9, 2.0, -v8
	v_mul_f32_e32 v77, v30, v43
	v_mul_f32_e32 v78, v31, v43
	;; [unrolled: 1-line block ×3, first 2 shown]
	v_sub_f32_e32 v112, v85, v72
	v_sub_f32_e32 v66, v23, v102
	v_fma_f32 v11, v11, 2.0, -v10
	v_fma_f32 v13, v13, 2.0, -v12
	;; [unrolled: 1-line block ×7, first 2 shown]
	ds_write2_b32 v103, v9, v8 offset1:2
	ds_write2_b32 v104, v11, v10 offset1:2
	;; [unrolled: 1-line block ×8, first 2 shown]
	v_and_or_b32 v8, v45, s2, v74
	s_movk_i32 s2, 0x4fc
	v_fmac_f32_e32 v77, v58, v42
	v_fmac_f32_e32 v78, v64, v42
	;; [unrolled: 1-line block ×3, first 2 shown]
	v_fma_f32 v85, v85, 2.0, -v112
	v_fma_f32 v72, v23, 2.0, -v66
	v_lshl_add_u32 v23, v76, 2, 0
	v_lshl_add_u32 v111, v8, 2, 0
	v_and_or_b32 v8, v44, s2, v74
	s_movk_i32 s2, 0x5fc
	v_sub_f32_e32 v77, v86, v77
	v_sub_f32_e32 v78, v87, v78
	;; [unrolled: 1-line block ×3, first 2 shown]
	ds_write2_b32 v23, v85, v112 offset1:2
	v_lshl_add_u32 v112, v8, 2, 0
	v_and_or_b32 v8, v39, s2, v74
	v_fma_f32 v86, v86, 2.0, -v77
	v_fma_f32 v87, v87, 2.0, -v78
	;; [unrolled: 1-line block ×3, first 2 shown]
	v_lshl_add_u32 v113, v8, 2, 0
	v_lshlrev_b32_e32 v63, 1, v7
	ds_write2_b32 v111, v86, v77 offset1:2
	ds_write2_b32 v112, v87, v78 offset1:2
	ds_write2_b32 v113, v88, v101 offset1:2
	s_and_saveexec_b64 s[2:3], s[0:1]
	s_cbranch_execz .LBB0_25
; %bb.24:
	s_movk_i32 s6, 0x57c
	v_and_or_b32 v7, v63, s6, v74
	v_lshl_add_u32 v7, v7, 2, 0
	ds_write2_b32 v7, v72, v66 offset1:2
.LBB0_25:
	s_or_b64 exec, exec, s[2:3]
	v_add_u32_e32 v7, 0x800, v0
	s_waitcnt lgkmcnt(0)
	; wave barrier
	s_waitcnt lgkmcnt(0)
	ds_read2_b32 v[11:12], v7 offset0:188 offset1:244
	v_add_u32_e32 v7, 0xc00, v0
	v_add_u32_e32 v15, 0x1000, v0
	ds_read2_b32 v[13:14], v7 offset0:44 offset1:100
	ds_read2_b32 v[7:8], v7 offset0:156 offset1:212
	;; [unrolled: 1-line block ×3, first 2 shown]
	ds_read_b32 v76, v0
	ds_read_b32 v77, v53
	;; [unrolled: 1-line block ×8, first 2 shown]
	ds_read2_b32 v[15:16], v15 offset0:124 offset1:180
	v_add_u32_e32 v17, 0x1200, v0
	ds_read2_b32 v[17:18], v17 offset0:108 offset1:164
	ds_read_b32 v87, v79
	ds_read_b32 v88, v80
	ds_read_b32 v101, v56
	ds_read_b32 v102, v81
	s_and_saveexec_b64 s[2:3], s[0:1]
	s_cbranch_execz .LBB0_27
; %bb.26:
	ds_read_b32 v72, v0 offset:2688
	ds_read_b32 v66, v0 offset:5488
.LBB0_27:
	s_or_b64 exec, exec, s[2:3]
	v_mul_f32_e32 v33, v33, v43
	v_fma_f32 v21, v21, v42, -v33
	v_mul_f32_e32 v33, v34, v43
	v_fma_f32 v22, v22, v42, -v33
	;; [unrolled: 2-line block ×10, first 2 shown]
	v_mul_f32_e32 v33, v64, v43
	v_mul_f32_e32 v24, v24, v43
	v_fma_f32 v31, v31, v42, -v33
	v_mul_f32_e32 v33, v65, v43
	v_fma_f32 v6, v6, v42, -v24
	v_fma_f32 v32, v32, v42, -v33
	v_sub_f32_e32 v21, v97, v21
	v_sub_f32_e32 v33, v5, v6
	v_fma_f32 v24, v97, 2.0, -v21
	v_sub_f32_e32 v22, v95, v22
	v_sub_f32_e32 v25, v94, v25
	;; [unrolled: 1-line block ×11, first 2 shown]
	v_fma_f32 v5, v5, 2.0, -v33
	v_fma_f32 v34, v95, 2.0, -v22
	v_fma_f32 v35, v94, 2.0, -v25
	v_fma_f32 v36, v93, 2.0, -v26
	v_fma_f32 v37, v92, 2.0, -v19
	v_fma_f32 v38, v91, 2.0, -v20
	v_fma_f32 v40, v90, 2.0, -v27
	v_fma_f32 v41, v89, 2.0, -v28
	v_fma_f32 v42, v100, 2.0, -v29
	v_fma_f32 v43, v99, 2.0, -v30
	v_fma_f32 v57, v98, 2.0, -v31
	v_fma_f32 v58, v96, 2.0, -v32
	s_waitcnt lgkmcnt(0)
	; wave barrier
	s_waitcnt lgkmcnt(0)
	ds_write2_b32 v103, v24, v21 offset1:2
	ds_write2_b32 v104, v34, v22 offset1:2
	;; [unrolled: 1-line block ×12, first 2 shown]
	s_and_saveexec_b64 s[2:3], s[0:1]
	s_cbranch_execz .LBB0_29
; %bb.28:
	s_movk_i32 s6, 0x57c
	v_and_or_b32 v6, v63, s6, v74
	v_lshl_add_u32 v6, v6, 2, 0
	ds_write2_b32 v6, v5, v33 offset1:2
.LBB0_29:
	s_or_b64 exec, exec, s[2:3]
	v_add_u32_e32 v6, 0x800, v0
	s_waitcnt lgkmcnt(0)
	; wave barrier
	s_waitcnt lgkmcnt(0)
	ds_read2_b32 v[23:24], v6 offset0:188 offset1:244
	v_add_u32_e32 v6, 0xc00, v0
	ds_read2_b32 v[25:26], v6 offset0:44 offset1:100
	ds_read2_b32 v[19:20], v6 offset0:156 offset1:212
	v_add_u32_e32 v6, 0x1000, v0
	ds_read2_b32 v[21:22], v6 offset0:12 offset1:68
	ds_read_b32 v65, v0
	ds_read_b32 v64, v53
	;; [unrolled: 1-line block ×8, first 2 shown]
	ds_read2_b32 v[27:28], v6 offset0:124 offset1:180
	v_add_u32_e32 v6, 0x1200, v0
	ds_read2_b32 v[29:30], v6 offset0:108 offset1:164
	ds_read_b32 v58, v79
	ds_read_b32 v43, v80
	;; [unrolled: 1-line block ×4, first 2 shown]
	s_and_saveexec_b64 s[2:3], s[0:1]
	s_cbranch_execz .LBB0_31
; %bb.30:
	ds_read_b32 v5, v0 offset:2688
	ds_read_b32 v33, v0 offset:5488
.LBB0_31:
	s_or_b64 exec, exec, s[2:3]
	v_and_b32_e32 v36, 3, v67
	v_lshlrev_b32_e32 v6, 3, v36
	global_load_dwordx2 v[31:32], v6, s[12:13] offset:16
	s_movk_i32 s2, 0x78
	s_movk_i32 s3, 0xf8
	;; [unrolled: 1-line block ×5, first 2 shown]
	v_and_or_b32 v6, v48, s2, v36
	s_movk_i32 s2, 0x7f8
	v_and_or_b32 v48, v49, s3, v36
	v_and_or_b32 v49, v50, s6, v36
	;; [unrolled: 1-line block ×8, first 2 shown]
	v_lshl_add_u32 v46, v6, 2, 0
	v_and_or_b32 v45, v45, s2, v36
	s_movk_i32 s2, 0x4f8
	v_lshl_add_u32 v47, v48, 2, 0
	v_lshl_add_u32 v48, v49, 2, 0
	;; [unrolled: 1-line block ×7, first 2 shown]
	v_and_or_b32 v44, v44, s2, v36
	s_movk_i32 s2, 0x5f8
	v_and_or_b32 v39, v39, s2, v36
	v_lshl_add_u32 v73, v73, 2, 0
	v_lshl_add_u32 v45, v45, 2, 0
	;; [unrolled: 1-line block ×4, first 2 shown]
	s_waitcnt lgkmcnt(0)
	; wave barrier
	s_waitcnt vmcnt(0) lgkmcnt(0)
	v_mul_f32_e32 v6, v23, v32
	v_mul_f32_e32 v91, v28, v32
	;; [unrolled: 1-line block ×13, first 2 shown]
	v_fmac_f32_e32 v6, v11, v31
	v_fmac_f32_e32 v91, v16, v31
	;; [unrolled: 1-line block ×13, first 2 shown]
	v_sub_f32_e32 v95, v76, v6
	v_sub_f32_e32 v91, v88, v91
	;; [unrolled: 1-line block ×13, first 2 shown]
	v_fma_f32 v76, v76, 2.0, -v95
	v_fma_f32 v88, v88, 2.0, -v91
	;; [unrolled: 1-line block ×12, first 2 shown]
	ds_write2_b32 v46, v76, v95 offset1:4
	ds_write2_b32 v47, v77, v59 offset1:4
	;; [unrolled: 1-line block ×12, first 2 shown]
	s_and_saveexec_b64 s[2:3], s[0:1]
	s_cbranch_execz .LBB0_33
; %bb.32:
	s_movk_i32 s6, 0x578
	v_and_or_b32 v59, v63, s6, v36
	v_lshl_add_u32 v59, v59, 2, 0
	v_fma_f32 v61, v72, 2.0, -v6
	ds_write2_b32 v59, v61, v6 offset1:4
.LBB0_33:
	s_or_b64 exec, exec, s[2:3]
	v_mul_f32_e32 v15, v15, v32
	v_mul_f32_e32 v7, v7, v32
	;; [unrolled: 1-line block ×4, first 2 shown]
	v_fma_f32 v15, v27, v31, -v15
	v_mul_f32_e32 v11, v11, v32
	v_mul_f32_e32 v12, v12, v32
	v_mul_f32_e32 v13, v13, v32
	v_mul_f32_e32 v14, v14, v32
	v_fma_f32 v7, v19, v31, -v7
	v_mul_f32_e32 v8, v8, v32
	v_fma_f32 v9, v21, v31, -v9
	v_fma_f32 v10, v22, v31, -v10
	v_mul_f32_e32 v16, v16, v32
	v_mul_f32_e32 v17, v17, v32
	;; [unrolled: 1-line block ×4, first 2 shown]
	v_sub_f32_e32 v83, v58, v15
	v_fma_f32 v11, v23, v31, -v11
	v_fma_f32 v12, v24, v31, -v12
	;; [unrolled: 1-line block ×9, first 2 shown]
	v_sub_f32_e32 v79, v35, v9
	v_sub_f32_e32 v81, v34, v10
	v_fma_f32 v84, v58, 2.0, -v83
	v_add_u32_e32 v31, 0xc00, v0
	v_add_u32_e32 v58, 0x1000, v0
	;; [unrolled: 1-line block ×4, first 2 shown]
	v_sub_f32_e32 v72, v57, v13
	v_sub_f32_e32 v75, v42, v14
	;; [unrolled: 1-line block ×3, first 2 shown]
	v_fma_f32 v80, v35, 2.0, -v79
	v_fma_f32 v82, v34, 2.0, -v81
	v_sub_f32_e32 v8, v5, v19
	s_waitcnt lgkmcnt(0)
	; wave barrier
	s_waitcnt lgkmcnt(0)
	ds_read_b32 v9, v56
	ds_read2_b32 v[25:26], v31 offset0:72 offset1:128
	ds_read2_b32 v[13:14], v58 offset0:40 offset1:96
	;; [unrolled: 1-line block ×6, first 2 shown]
	ds_read_b32 v35, v0
	ds_read_b32 v34, v53
	;; [unrolled: 1-line block ×4, first 2 shown]
	ds_read2_b32 v[19:20], v59 offset0:192 offset1:248
	v_sub_f32_e32 v66, v65, v11
	v_sub_f32_e32 v77, v40, v7
	v_add_u32_e32 v7, 0xa00, v0
	v_add_u32_e32 v11, 0x1400, v0
	v_fma_f32 v76, v42, 2.0, -v75
	v_sub_f32_e32 v85, v43, v16
	v_sub_f32_e32 v86, v41, v17
	;; [unrolled: 1-line block ×3, first 2 shown]
	ds_read2_b32 v[17:18], v7 offset0:88 offset1:144
	ds_read2_b32 v[15:16], v11 offset0:8 offset1:64
	ds_read_b32 v42, v54
	ds_read_b32 v10, v62
	v_fma_f32 v65, v65, 2.0, -v66
	v_sub_f32_e32 v12, v64, v12
	v_fma_f32 v64, v64, 2.0, -v12
	v_fma_f32 v57, v57, 2.0, -v72
	;; [unrolled: 1-line block ×7, first 2 shown]
	s_waitcnt lgkmcnt(0)
	; wave barrier
	s_waitcnt lgkmcnt(0)
	ds_write2_b32 v46, v65, v66 offset1:4
	ds_write2_b32 v47, v64, v12 offset1:4
	;; [unrolled: 1-line block ×12, first 2 shown]
	s_and_saveexec_b64 s[2:3], s[0:1]
	s_cbranch_execz .LBB0_35
; %bb.34:
	s_movk_i32 s0, 0x578
	v_and_or_b32 v12, v63, s0, v36
	v_fma_f32 v5, v5, 2.0, -v8
	v_lshl_add_u32 v12, v12, 2, 0
	ds_write2_b32 v12, v5, v8 offset1:4
.LBB0_35:
	s_or_b64 exec, exec, s[2:3]
	v_and_b32_e32 v36, 7, v67
	v_lshlrev_b32_e32 v5, 5, v36
	s_waitcnt lgkmcnt(0)
	; wave barrier
	s_waitcnt lgkmcnt(0)
	global_load_dwordx4 v[91:94], v5, s[12:13] offset:48
	global_load_dwordx4 v[95:98], v5, s[12:13] offset:64
	ds_read_b32 v5, v56
	ds_read2_b32 v[45:46], v31 offset0:72 offset1:128
	ds_read2_b32 v[99:100], v58 offset0:40 offset1:96
	;; [unrolled: 1-line block ×6, first 2 shown]
	ds_read_b32 v40, v0
	ds_read_b32 v39, v53
	;; [unrolled: 1-line block ×5, first 2 shown]
	ds_read2_b32 v[103:104], v59 offset0:192 offset1:248
	ds_read2_b32 v[105:106], v7 offset0:88 offset1:144
	;; [unrolled: 1-line block ×3, first 2 shown]
	ds_read_b32 v12, v62
	s_waitcnt lgkmcnt(0)
	; wave barrier
	s_waitcnt lgkmcnt(0)
	v_cmp_gt_u32_e64 s[0:1], 32, v67
	s_waitcnt vmcnt(1)
	v_mul_f32_e32 v72, v9, v94
	v_mul_f32_e32 v80, v5, v94
	;; [unrolled: 1-line block ×3, first 2 shown]
	v_fma_f32 v88, v5, v93, -v72
	s_waitcnt vmcnt(0)
	v_mul_f32_e32 v5, v15, v98
	v_mul_f32_e32 v66, v51, v94
	v_mul_f32_e32 v44, v107, v98
	v_fma_f32 v84, v51, v93, -v84
	v_fma_f32 v51, v107, v97, -v5
	v_mul_f32_e32 v5, v20, v92
	v_fmac_f32_e32 v44, v15, v97
	v_fma_f32 v15, v104, v91, -v5
	v_mul_f32_e32 v5, v18, v94
	v_mul_f32_e32 v79, v43, v92
	;; [unrolled: 1-line block ×5, first 2 shown]
	v_fmac_f32_e32 v66, v29, v93
	v_fma_f32 v29, v106, v93, -v5
	v_mul_f32_e32 v5, v13, v96
	v_fmac_f32_e32 v79, v42, v91
	v_fma_f32 v90, v100, v97, -v75
	v_fmac_f32_e32 v50, v30, v93
	v_fma_f32 v75, v52, v93, -v110
	v_fma_f32 v30, v99, v95, -v5
	v_mul_f32_e32 v52, v108, v98
	v_mul_f32_e32 v5, v16, v98
	;; [unrolled: 1-line block ×3, first 2 shown]
	v_fmac_f32_e32 v80, v9, v93
	v_fmac_f32_e32 v52, v16, v97
	v_fma_f32 v16, v108, v97, -v5
	v_add_f32_e32 v5, v35, v79
	v_mul_f32_e32 v74, v25, v96
	v_mul_f32_e32 v82, v100, v98
	v_fmac_f32_e32 v81, v25, v95
	v_add_f32_e32 v5, v5, v80
	v_fma_f32 v89, v45, v95, -v74
	v_fmac_f32_e32 v82, v14, v97
	v_mul_f32_e32 v45, v99, v96
	v_add_f32_e32 v5, v5, v81
	v_mul_f32_e32 v57, v42, v92
	v_fmac_f32_e32 v45, v13, v95
	v_add_f32_e32 v13, v5, v82
	v_add_f32_e32 v5, v80, v81
	v_mul_f32_e32 v11, v105, v94
	v_fma_f32 v87, v43, v91, -v57
	v_fma_f32 v14, -0.5, v5, v35
	v_mul_f32_e32 v7, v103, v92
	v_mul_f32_e32 v114, v17, v94
	v_fmac_f32_e32 v11, v17, v93
	v_mul_f32_e32 v43, v106, v94
	v_sub_f32_e32 v5, v87, v90
	v_mov_b32_e32 v17, v14
	v_mul_f32_e32 v113, v19, v92
	v_fmac_f32_e32 v7, v19, v91
	v_fmac_f32_e32 v43, v18, v93
	;; [unrolled: 1-line block ×3, first 2 shown]
	v_sub_f32_e32 v9, v88, v89
	v_sub_f32_e32 v18, v79, v80
	;; [unrolled: 1-line block ×3, first 2 shown]
	v_fmac_f32_e32 v14, 0x3f737871, v5
	v_fmac_f32_e32 v17, 0xbf167918, v9
	v_add_f32_e32 v18, v18, v19
	v_fmac_f32_e32 v14, 0x3f167918, v9
	v_fmac_f32_e32 v17, 0x3e9e377a, v18
	;; [unrolled: 1-line block ×3, first 2 shown]
	v_add_f32_e32 v18, v79, v82
	v_fmac_f32_e32 v35, -0.5, v18
	v_mul_f32_e32 v65, v47, v92
	v_mov_b32_e32 v18, v35
	v_fmac_f32_e32 v65, v27, v91
	v_fmac_f32_e32 v18, 0x3f737871, v9
	;; [unrolled: 1-line block ×3, first 2 shown]
	v_mul_f32_e32 v73, v46, v96
	v_mul_f32_e32 v42, v104, v92
	v_fmac_f32_e32 v18, 0xbf167918, v5
	v_fmac_f32_e32 v35, 0x3f167918, v5
	v_add_f32_e32 v5, v34, v65
	v_mul_f32_e32 v78, v76, v98
	v_fmac_f32_e32 v73, v26, v95
	v_fmac_f32_e32 v42, v20, v91
	v_sub_f32_e32 v19, v80, v79
	v_sub_f32_e32 v20, v81, v82
	v_add_f32_e32 v5, v5, v66
	v_fmac_f32_e32 v78, v23, v97
	v_add_f32_e32 v19, v19, v20
	v_add_f32_e32 v5, v5, v73
	v_mul_f32_e32 v83, v27, v92
	v_mul_f32_e32 v86, v23, v98
	v_fmac_f32_e32 v18, 0x3e9e377a, v19
	v_fmac_f32_e32 v35, 0x3e9e377a, v19
	v_add_f32_e32 v19, v5, v78
	v_add_f32_e32 v5, v66, v73
	v_mul_f32_e32 v85, v26, v96
	v_mul_f32_e32 v63, v101, v96
	v_fma_f32 v83, v47, v91, -v83
	v_fma_f32 v86, v76, v97, -v86
	v_fma_f32 v20, -0.5, v5, v34
	v_mul_f32_e32 v111, v21, v96
	v_mul_f32_e32 v41, v102, v96
	v_fma_f32 v85, v46, v95, -v85
	v_fmac_f32_e32 v63, v21, v95
	v_sub_f32_e32 v5, v83, v86
	v_mov_b32_e32 v21, v20
	v_mul_f32_e32 v115, v22, v96
	v_fmac_f32_e32 v41, v22, v95
	v_fmac_f32_e32 v21, 0xbf737871, v5
	v_sub_f32_e32 v9, v84, v85
	v_sub_f32_e32 v22, v65, v66
	;; [unrolled: 1-line block ×3, first 2 shown]
	v_fmac_f32_e32 v20, 0x3f737871, v5
	v_fmac_f32_e32 v21, 0xbf167918, v9
	v_add_f32_e32 v22, v22, v23
	v_fmac_f32_e32 v20, 0x3f167918, v9
	v_fmac_f32_e32 v21, 0x3e9e377a, v22
	;; [unrolled: 1-line block ×3, first 2 shown]
	v_add_f32_e32 v22, v65, v78
	v_fmac_f32_e32 v34, -0.5, v22
	v_mul_f32_e32 v49, v48, v92
	v_mov_b32_e32 v22, v34
	v_fmac_f32_e32 v49, v28, v91
	v_fmac_f32_e32 v22, 0x3f737871, v9
	;; [unrolled: 1-line block ×3, first 2 shown]
	v_mul_f32_e32 v64, v77, v98
	v_fmac_f32_e32 v22, 0xbf167918, v5
	v_fmac_f32_e32 v34, 0x3f167918, v5
	v_add_f32_e32 v5, v33, v49
	v_mul_f32_e32 v112, v24, v98
	v_fmac_f32_e32 v64, v24, v97
	v_sub_f32_e32 v23, v66, v65
	v_sub_f32_e32 v24, v73, v78
	v_add_f32_e32 v5, v5, v50
	v_add_f32_e32 v23, v23, v24
	;; [unrolled: 1-line block ×3, first 2 shown]
	v_mul_f32_e32 v109, v28, v92
	v_fmac_f32_e32 v22, 0x3e9e377a, v23
	v_fmac_f32_e32 v34, 0x3e9e377a, v23
	v_add_f32_e32 v23, v5, v64
	v_add_f32_e32 v5, v50, v63
	v_fma_f32 v74, v48, v91, -v109
	v_fma_f32 v77, v77, v97, -v112
	v_fma_f32 v24, -0.5, v5, v33
	v_fma_f32 v76, v101, v95, -v111
	v_sub_f32_e32 v5, v74, v77
	v_mov_b32_e32 v25, v24
	v_fmac_f32_e32 v25, 0xbf737871, v5
	v_sub_f32_e32 v9, v75, v76
	v_sub_f32_e32 v26, v49, v50
	;; [unrolled: 1-line block ×3, first 2 shown]
	v_fmac_f32_e32 v24, 0x3f737871, v5
	v_fmac_f32_e32 v25, 0xbf167918, v9
	v_add_f32_e32 v26, v26, v27
	v_fmac_f32_e32 v24, 0x3f167918, v9
	v_fmac_f32_e32 v25, 0x3e9e377a, v26
	v_fmac_f32_e32 v24, 0x3e9e377a, v26
	v_add_f32_e32 v26, v49, v64
	v_fmac_f32_e32 v33, -0.5, v26
	v_mov_b32_e32 v26, v33
	v_fmac_f32_e32 v26, 0x3f737871, v9
	v_fmac_f32_e32 v33, 0xbf737871, v9
	;; [unrolled: 1-line block ×4, first 2 shown]
	v_add_f32_e32 v5, v32, v7
	v_sub_f32_e32 v27, v50, v49
	v_sub_f32_e32 v28, v63, v64
	v_add_f32_e32 v5, v5, v11
	v_add_f32_e32 v27, v27, v28
	;; [unrolled: 1-line block ×3, first 2 shown]
	v_fmac_f32_e32 v26, 0x3e9e377a, v27
	v_fmac_f32_e32 v33, 0x3e9e377a, v27
	v_add_f32_e32 v27, v5, v44
	v_add_f32_e32 v5, v11, v41
	v_fma_f32 v46, v103, v91, -v113
	v_fma_f32 v28, -0.5, v5, v32
	v_fma_f32 v47, v105, v93, -v114
	v_fma_f32 v48, v102, v95, -v115
	v_sub_f32_e32 v5, v46, v51
	v_mov_b32_e32 v72, v28
	v_fmac_f32_e32 v72, 0xbf737871, v5
	v_sub_f32_e32 v9, v47, v48
	v_sub_f32_e32 v57, v7, v11
	;; [unrolled: 1-line block ×3, first 2 shown]
	v_fmac_f32_e32 v28, 0x3f737871, v5
	v_fmac_f32_e32 v72, 0xbf167918, v9
	v_add_f32_e32 v57, v57, v91
	v_fmac_f32_e32 v28, 0x3f167918, v9
	v_fmac_f32_e32 v72, 0x3e9e377a, v57
	;; [unrolled: 1-line block ×3, first 2 shown]
	v_add_f32_e32 v57, v7, v44
	v_fmac_f32_e32 v32, -0.5, v57
	v_mov_b32_e32 v95, v32
	v_fmac_f32_e32 v95, 0x3f737871, v9
	v_fmac_f32_e32 v32, 0xbf737871, v9
	;; [unrolled: 1-line block ×4, first 2 shown]
	v_add_f32_e32 v5, v10, v42
	v_add_f32_e32 v5, v5, v43
	v_add_f32_e32 v5, v5, v45
	v_sub_f32_e32 v57, v11, v7
	v_sub_f32_e32 v91, v41, v44
	v_add_f32_e32 v96, v5, v52
	v_add_f32_e32 v5, v43, v45
	;; [unrolled: 1-line block ×3, first 2 shown]
	v_fma_f32 v5, -0.5, v5, v10
	v_fmac_f32_e32 v95, 0x3e9e377a, v57
	v_fmac_f32_e32 v32, 0x3e9e377a, v57
	v_sub_f32_e32 v91, v15, v16
	v_mov_b32_e32 v57, v5
	v_fmac_f32_e32 v57, 0xbf737871, v91
	v_sub_f32_e32 v92, v29, v30
	v_sub_f32_e32 v9, v42, v43
	;; [unrolled: 1-line block ×3, first 2 shown]
	v_fmac_f32_e32 v5, 0x3f737871, v91
	v_fmac_f32_e32 v57, 0xbf167918, v92
	v_add_f32_e32 v9, v9, v93
	v_fmac_f32_e32 v5, 0x3f167918, v92
	v_fmac_f32_e32 v57, 0x3e9e377a, v9
	;; [unrolled: 1-line block ×3, first 2 shown]
	v_add_f32_e32 v9, v42, v52
	v_fmac_f32_e32 v10, -0.5, v9
	v_mov_b32_e32 v9, v10
	v_fmac_f32_e32 v9, 0x3f737871, v92
	v_fmac_f32_e32 v10, 0xbf737871, v92
	v_lshrrev_b32_e32 v92, 3, v68
	v_fmac_f32_e32 v9, 0xbf167918, v91
	v_fmac_f32_e32 v10, 0x3f167918, v91
	v_lshrrev_b32_e32 v91, 3, v67
	v_mul_lo_u32 v92, v92, 40
	v_mul_u32_u24_e32 v91, 40, v91
	v_or_b32_e32 v91, v91, v36
	v_lshl_add_u32 v91, v91, 2, 0
	ds_write2_b32 v91, v13, v17 offset1:8
	ds_write2_b32 v91, v18, v35 offset0:16 offset1:24
	ds_write_b32 v91, v14 offset:128
	v_or_b32_e32 v13, v92, v36
	v_lshl_add_u32 v92, v13, 2, 0
	v_lshrrev_b32_e32 v13, 3, v69
	v_mul_lo_u32 v13, v13, 40
	v_sub_f32_e32 v93, v43, v42
	v_sub_f32_e32 v94, v45, v52
	v_add_f32_e32 v93, v93, v94
	v_or_b32_e32 v13, v13, v36
	v_fmac_f32_e32 v9, 0x3e9e377a, v93
	v_fmac_f32_e32 v10, 0x3e9e377a, v93
	v_lshl_add_u32 v93, v13, 2, 0
	v_lshrrev_b32_e32 v13, 3, v70
	v_mul_lo_u32 v13, v13, 40
	ds_write2_b32 v92, v19, v21 offset1:8
	ds_write2_b32 v92, v22, v34 offset0:16 offset1:24
	ds_write_b32 v92, v20 offset:128
	ds_write2_b32 v93, v23, v25 offset1:8
	ds_write2_b32 v93, v26, v33 offset0:16 offset1:24
	ds_write_b32 v93, v24 offset:128
                                        ; implicit-def: $vgpr18
	v_or_b32_e32 v13, v13, v36
	v_lshl_add_u32 v94, v13, 2, 0
	v_lshrrev_b32_e32 v13, 3, v71
	v_mul_lo_u32 v13, v13, 40
	ds_write2_b32 v94, v27, v72 offset1:8
	ds_write2_b32 v94, v95, v32 offset0:16 offset1:24
	ds_write_b32 v94, v28 offset:128
	v_or_b32_e32 v13, v13, v36
	v_lshl_add_u32 v95, v13, 2, 0
	ds_write2_b32 v95, v96, v57 offset1:8
	ds_write2_b32 v95, v9, v10 offset0:16 offset1:24
	ds_write_b32 v95, v5 offset:128
	s_waitcnt lgkmcnt(0)
	; wave barrier
	s_waitcnt lgkmcnt(0)
	ds_read2_b32 v[13:14], v0 offset1:200
	ds_read2_b32 v[35:36], v59 offset0:144 offset1:200
	ds_read2_b32 v[23:24], v61 offset1:88
	ds_read2_b32 v[33:34], v31 offset0:32 offset1:88
	ds_read2_b32 v[19:20], v31 offset0:144 offset1:232
	;; [unrolled: 1-line block ×3, first 2 shown]
	ds_read2_b32 v[27:28], v59 offset1:56
	ds_read2_b32 v[25:26], v61 offset0:144 offset1:200
	ds_read2_b32 v[21:22], v58 offset0:32 offset1:88
	ds_read_b32 v59, v55
	ds_read_b32 v61, v53
	ds_read_b32 v72, v0 offset:5248
	s_and_saveexec_b64 s[2:3], s[0:1]
	s_cbranch_execz .LBB0_37
; %bb.36:
	v_add_u32_e32 v5, 0x500, v0
	ds_read2_b32 v[9:10], v5 offset0:48 offset1:248
	v_add_u32_e32 v5, 0xc00, v0
	v_add_u32_e32 v17, 0x1200, v0
	ds_read_b32 v57, v60
	ds_read2_b32 v[5:6], v5 offset1:200
	ds_read2_b32 v[17:18], v17 offset0:16 offset1:216
.LBB0_37:
	s_or_b64 exec, exec, s[2:3]
	v_add_f32_e32 v58, v40, v87
	v_add_f32_e32 v58, v58, v88
	;; [unrolled: 1-line block ×5, first 2 shown]
	v_fma_f32 v97, -0.5, v58, v40
	v_sub_f32_e32 v58, v79, v82
	v_mov_b32_e32 v79, v97
	v_fmac_f32_e32 v79, 0x3f737871, v58
	v_sub_f32_e32 v80, v80, v81
	v_sub_f32_e32 v81, v87, v88
	;; [unrolled: 1-line block ×3, first 2 shown]
	v_fmac_f32_e32 v97, 0xbf737871, v58
	v_fmac_f32_e32 v79, 0x3f167918, v80
	v_add_f32_e32 v81, v81, v82
	v_fmac_f32_e32 v97, 0xbf167918, v80
	v_fmac_f32_e32 v79, 0x3e9e377a, v81
	;; [unrolled: 1-line block ×3, first 2 shown]
	v_add_f32_e32 v81, v87, v90
	v_fmac_f32_e32 v40, -0.5, v81
	v_mov_b32_e32 v81, v40
	v_fmac_f32_e32 v81, 0xbf737871, v80
	v_fmac_f32_e32 v40, 0x3f737871, v80
	;; [unrolled: 1-line block ×4, first 2 shown]
	v_add_f32_e32 v58, v39, v83
	v_add_f32_e32 v58, v58, v84
	v_sub_f32_e32 v82, v88, v87
	v_sub_f32_e32 v87, v89, v90
	v_add_f32_e32 v58, v58, v85
	v_add_f32_e32 v82, v82, v87
	;; [unrolled: 1-line block ×4, first 2 shown]
	v_fmac_f32_e32 v81, 0x3e9e377a, v82
	v_fmac_f32_e32 v40, 0x3e9e377a, v82
	v_fma_f32 v82, -0.5, v58, v39
	v_sub_f32_e32 v58, v65, v78
	v_mov_b32_e32 v65, v82
	v_fmac_f32_e32 v65, 0x3f737871, v58
	v_sub_f32_e32 v66, v66, v73
	v_sub_f32_e32 v73, v83, v84
	;; [unrolled: 1-line block ×3, first 2 shown]
	v_fmac_f32_e32 v82, 0xbf737871, v58
	v_fmac_f32_e32 v65, 0x3f167918, v66
	v_add_f32_e32 v73, v73, v78
	v_fmac_f32_e32 v82, 0xbf167918, v66
	v_fmac_f32_e32 v65, 0x3e9e377a, v73
	v_fmac_f32_e32 v82, 0x3e9e377a, v73
	v_add_f32_e32 v73, v83, v86
	v_fmac_f32_e32 v39, -0.5, v73
	v_mov_b32_e32 v73, v39
	v_fmac_f32_e32 v73, 0xbf737871, v66
	v_fmac_f32_e32 v39, 0x3f737871, v66
	;; [unrolled: 1-line block ×4, first 2 shown]
	v_add_f32_e32 v58, v38, v74
	v_add_f32_e32 v58, v58, v75
	v_sub_f32_e32 v78, v84, v83
	v_sub_f32_e32 v83, v85, v86
	v_add_f32_e32 v58, v58, v76
	v_add_f32_e32 v78, v78, v83
	;; [unrolled: 1-line block ×4, first 2 shown]
	v_fmac_f32_e32 v73, 0x3e9e377a, v78
	v_fmac_f32_e32 v39, 0x3e9e377a, v78
	v_fma_f32 v78, -0.5, v58, v38
	v_sub_f32_e32 v49, v49, v64
	v_mov_b32_e32 v64, v78
	v_fmac_f32_e32 v64, 0x3f737871, v49
	v_sub_f32_e32 v50, v50, v63
	v_sub_f32_e32 v58, v74, v75
	;; [unrolled: 1-line block ×3, first 2 shown]
	v_fmac_f32_e32 v78, 0xbf737871, v49
	v_fmac_f32_e32 v64, 0x3f167918, v50
	v_add_f32_e32 v58, v58, v63
	v_fmac_f32_e32 v78, 0xbf167918, v50
	v_fmac_f32_e32 v64, 0x3e9e377a, v58
	;; [unrolled: 1-line block ×3, first 2 shown]
	v_add_f32_e32 v58, v74, v77
	v_fmac_f32_e32 v38, -0.5, v58
	v_mov_b32_e32 v63, v38
	v_fmac_f32_e32 v63, 0xbf737871, v50
	v_fmac_f32_e32 v38, 0x3f737871, v50
	v_add_f32_e32 v50, v47, v48
	v_sub_f32_e32 v58, v75, v74
	v_sub_f32_e32 v74, v76, v77
	v_fma_f32 v50, -0.5, v50, v37
	v_fmac_f32_e32 v63, 0x3f167918, v49
	v_add_f32_e32 v58, v58, v74
	v_fmac_f32_e32 v38, 0xbf167918, v49
	v_sub_f32_e32 v7, v7, v44
	v_mov_b32_e32 v44, v50
	v_fmac_f32_e32 v63, 0x3e9e377a, v58
	v_fmac_f32_e32 v38, 0x3e9e377a, v58
	;; [unrolled: 1-line block ×3, first 2 shown]
	v_sub_f32_e32 v11, v11, v41
	v_sub_f32_e32 v41, v46, v47
	;; [unrolled: 1-line block ×3, first 2 shown]
	v_fmac_f32_e32 v50, 0xbf737871, v7
	v_fmac_f32_e32 v44, 0x3f167918, v11
	v_add_f32_e32 v41, v41, v58
	v_fmac_f32_e32 v50, 0xbf167918, v11
	v_fmac_f32_e32 v44, 0x3e9e377a, v41
	;; [unrolled: 1-line block ×3, first 2 shown]
	v_add_f32_e32 v41, v46, v51
	v_add_f32_e32 v49, v37, v46
	v_fmac_f32_e32 v37, -0.5, v41
	v_mov_b32_e32 v41, v37
	v_fmac_f32_e32 v41, 0xbf737871, v11
	v_fmac_f32_e32 v37, 0x3f737871, v11
	;; [unrolled: 1-line block ×4, first 2 shown]
	v_add_f32_e32 v7, v12, v15
	v_add_f32_e32 v49, v49, v47
	v_sub_f32_e32 v46, v47, v46
	v_sub_f32_e32 v47, v48, v51
	v_add_f32_e32 v7, v7, v29
	v_add_f32_e32 v46, v46, v47
	;; [unrolled: 1-line block ×3, first 2 shown]
	v_fmac_f32_e32 v41, 0x3e9e377a, v46
	v_fmac_f32_e32 v37, 0x3e9e377a, v46
	v_add_f32_e32 v46, v7, v16
	v_add_f32_e32 v7, v29, v30
	v_fma_f32 v7, -0.5, v7, v12
	v_sub_f32_e32 v42, v42, v52
	v_mov_b32_e32 v58, v7
	v_fmac_f32_e32 v58, 0x3f737871, v42
	v_sub_f32_e32 v43, v43, v45
	v_sub_f32_e32 v11, v15, v29
	;; [unrolled: 1-line block ×3, first 2 shown]
	v_fmac_f32_e32 v7, 0xbf737871, v42
	v_fmac_f32_e32 v58, 0x3f167918, v43
	v_add_f32_e32 v11, v11, v45
	v_fmac_f32_e32 v7, 0xbf167918, v43
	v_fmac_f32_e32 v58, 0x3e9e377a, v11
	;; [unrolled: 1-line block ×3, first 2 shown]
	v_add_f32_e32 v11, v15, v16
	v_fmac_f32_e32 v12, -0.5, v11
	v_mov_b32_e32 v11, v12
	v_fmac_f32_e32 v11, 0xbf737871, v43
	v_sub_f32_e32 v15, v29, v15
	v_sub_f32_e32 v16, v30, v16
	v_fmac_f32_e32 v12, 0x3f737871, v43
	v_add_f32_e32 v49, v49, v48
	v_fmac_f32_e32 v11, 0x3f167918, v42
	v_add_f32_e32 v15, v15, v16
	;; [unrolled: 2-line block ×3, first 2 shown]
	v_fmac_f32_e32 v11, 0x3e9e377a, v15
	v_fmac_f32_e32 v12, 0x3e9e377a, v15
	s_waitcnt lgkmcnt(0)
	; wave barrier
	s_waitcnt lgkmcnt(0)
	ds_write2_b32 v91, v96, v79 offset1:8
	ds_write2_b32 v91, v81, v40 offset0:16 offset1:24
	ds_write_b32 v91, v97 offset:128
	ds_write2_b32 v92, v80, v65 offset1:8
	ds_write2_b32 v92, v73, v39 offset0:16 offset1:24
	ds_write_b32 v92, v82 offset:128
	;; [unrolled: 3-line block ×5, first 2 shown]
	v_add_u32_e32 v30, 0x400, v0
	v_add_u32_e32 v39, 0x800, v0
	;; [unrolled: 1-line block ×4, first 2 shown]
	s_waitcnt lgkmcnt(0)
	; wave barrier
	s_waitcnt lgkmcnt(0)
	ds_read2_b32 v[15:16], v0 offset1:200
	ds_read2_b32 v[51:52], v30 offset0:144 offset1:200
	ds_read2_b32 v[41:42], v39 offset1:88
	ds_read2_b32 v[49:50], v29 offset0:32 offset1:88
	ds_read2_b32 v[37:38], v29 offset0:144 offset1:232
	;; [unrolled: 1-line block ×3, first 2 shown]
	ds_read2_b32 v[45:46], v30 offset1:56
	ds_read2_b32 v[43:44], v39 offset0:144 offset1:200
	ds_read2_b32 v[39:40], v40 offset0:32 offset1:88
	ds_read_b32 v63, v55
	ds_read_b32 v64, v53
	ds_read_b32 v75, v0 offset:5248
                                        ; implicit-def: $vgpr30
	s_and_saveexec_b64 s[2:3], s[0:1]
	s_cbranch_execz .LBB0_39
; %bb.38:
	v_add_u32_e32 v7, 0x500, v0
	ds_read_b32 v58, v60
	ds_read2_b32 v[11:12], v7 offset0:48 offset1:248
	ds_read2_b32 v[7:8], v29 offset1:200
	v_add_u32_e32 v29, 0x1200, v0
	ds_read2_b32 v[29:30], v29 offset0:16 offset1:216
.LBB0_39:
	s_or_b64 exec, exec, s[2:3]
	v_subrev_u32_e32 v65, 40, v67
	v_cmp_gt_u32_e64 s[2:3], 40, v67
	v_cndmask_b32_e64 v66, v65, v67, s[2:3]
	v_mul_i32_i24_e32 v73, 6, v66
	v_mov_b32_e32 v74, 0
	v_lshlrev_b64 v[73:74], 3, v[73:74]
	v_mov_b32_e32 v65, s13
	v_add_co_u32_e64 v73, s[2:3], s12, v73
	v_addc_co_u32_e64 v74, s[2:3], v65, v74, s[2:3]
	global_load_dwordx4 v[76:79], v[73:74], off offset:336
	global_load_dwordx4 v[80:83], v[73:74], off offset:320
	;; [unrolled: 1-line block ×3, first 2 shown]
	s_movk_i32 s2, 0xcd
	v_mov_b32_e32 v88, 6
	s_mov_b32 s6, 0xbf5ff5aa
	s_mov_b32 s7, 0x3f3bfb3b
	;; [unrolled: 1-line block ×4, first 2 shown]
	s_waitcnt vmcnt(0) lgkmcnt(11)
	v_mul_f32_e32 v65, v16, v85
	v_fmac_f32_e32 v65, v14, v84
	v_mul_f32_e32 v14, v14, v85
	v_fma_f32 v16, v16, v84, -v14
	s_waitcnt lgkmcnt(10)
	v_mul_f32_e32 v14, v51, v87
	v_fmac_f32_e32 v14, v35, v86
	v_mul_f32_e32 v35, v35, v87
	v_fma_f32 v51, v51, v86, -v35
	s_waitcnt lgkmcnt(9)
	;; [unrolled: 5-line block ×5, first 2 shown]
	v_mul_f32_e32 v38, v47, v79
	v_fmac_f32_e32 v38, v31, v78
	v_mul_f32_e32 v31, v31, v79
	v_fma_f32 v31, v47, v78, -v31
	v_mul_lo_u16_sdwa v47, v68, s2 dst_sel:DWORD dst_unused:UNUSED_PAD src0_sel:BYTE_0 src1_sel:DWORD
	v_lshrrev_b16_e32 v73, 13, v47
	v_mul_lo_u16_e32 v47, 40, v73
	v_sub_u16_e32 v74, v68, v47
	v_mul_u32_u24_sdwa v47, v74, v88 dst_sel:DWORD dst_unused:UNUSED_PAD src0_sel:BYTE_0 src1_sel:DWORD
	v_lshlrev_b32_e32 v47, 3, v47
	global_load_dwordx4 v[76:79], v47, s[12:13] offset:336
	global_load_dwordx4 v[80:83], v47, s[12:13] offset:320
	;; [unrolled: 1-line block ×3, first 2 shown]
	s_waitcnt vmcnt(0) lgkmcnt(5)
	v_mul_f32_e32 v47, v45, v85
	v_fmac_f32_e32 v47, v27, v84
	v_mul_f32_e32 v27, v27, v85
	v_fma_f32 v45, v45, v84, -v27
	v_mul_f32_e32 v27, v52, v87
	v_fmac_f32_e32 v27, v36, v86
	v_mul_f32_e32 v36, v36, v87
	v_fma_f32 v52, v52, v86, -v36
	s_waitcnt lgkmcnt(4)
	v_mul_f32_e32 v36, v43, v81
	v_fmac_f32_e32 v36, v25, v80
	v_mul_f32_e32 v25, v25, v81
	v_fma_f32 v25, v43, v80, -v25
	v_mul_f32_e32 v43, v50, v83
	v_fmac_f32_e32 v43, v34, v82
	v_mul_f32_e32 v34, v34, v83
	v_fma_f32 v34, v50, v82, -v34
	s_waitcnt lgkmcnt(3)
	v_mul_f32_e32 v50, v39, v77
	v_fmac_f32_e32 v50, v21, v76
	v_mul_f32_e32 v21, v21, v77
	v_fma_f32 v21, v39, v76, -v21
	v_mul_f32_e32 v39, v48, v79
	v_fmac_f32_e32 v39, v32, v78
	v_mul_f32_e32 v32, v32, v79
	v_fma_f32 v32, v48, v78, -v32
	v_mul_lo_u16_sdwa v48, v69, s2 dst_sel:DWORD dst_unused:UNUSED_PAD src0_sel:BYTE_0 src1_sel:DWORD
	v_lshrrev_b16_e32 v90, 13, v48
	v_mul_lo_u16_e32 v48, 40, v90
	v_sub_u16_e32 v91, v69, v48
	v_mul_u32_u24_sdwa v48, v91, v88 dst_sel:DWORD dst_unused:UNUSED_PAD src0_sel:BYTE_0 src1_sel:DWORD
	v_lshlrev_b32_e32 v48, 3, v48
	global_load_dwordx4 v[76:79], v48, s[12:13] offset:336
	global_load_dwordx4 v[80:83], v48, s[12:13] offset:320
	;; [unrolled: 1-line block ×3, first 2 shown]
	s_waitcnt vmcnt(0)
	v_mul_f32_e32 v48, v46, v85
	v_fmac_f32_e32 v48, v28, v84
	v_mul_f32_e32 v28, v28, v85
	v_fma_f32 v46, v46, v84, -v28
	v_mul_f32_e32 v28, v41, v87
	v_fmac_f32_e32 v28, v23, v86
	v_mul_f32_e32 v23, v23, v87
	v_fma_f32 v41, v41, v86, -v23
	;; [unrolled: 4-line block ×5, first 2 shown]
	s_waitcnt lgkmcnt(0)
	v_mul_f32_e32 v40, v75, v79
	v_fmac_f32_e32 v40, v72, v78
	v_mul_f32_e32 v72, v72, v79
	v_fma_f32 v72, v75, v78, -v72
	v_mul_lo_u16_sdwa v75, v70, s2 dst_sel:DWORD dst_unused:UNUSED_PAD src0_sel:BYTE_0 src1_sel:DWORD
	v_lshrrev_b16_e32 v75, 13, v75
	v_mul_lo_u16_e32 v75, 40, v75
	v_sub_u16_e32 v75, v70, v75
	v_and_b32_e32 v92, 0xff, v75
	v_mul_u32_u24_e32 v75, 6, v92
	v_lshlrev_b32_e32 v75, 3, v75
	global_load_dwordx4 v[82:85], v75, s[12:13] offset:336
	global_load_dwordx4 v[78:81], v75, s[12:13] offset:320
	;; [unrolled: 1-line block ×3, first 2 shown]
	v_sub_f32_e32 v95, v19, v26
	v_cmp_lt_u32_e64 s[2:3], 39, v67
	s_waitcnt lgkmcnt(0)
	; wave barrier
	s_waitcnt vmcnt(0)
	v_mul_f32_e32 v75, v11, v87
	v_fmac_f32_e32 v75, v9, v86
	v_mul_f32_e32 v9, v9, v87
	v_fma_f32 v76, v11, v86, -v9
	v_mul_f32_e32 v9, v12, v89
	v_fmac_f32_e32 v9, v10, v88
	v_mul_f32_e32 v10, v10, v89
	v_fma_f32 v77, v12, v88, -v10
	;; [unrolled: 4-line block ×3, first 2 shown]
	v_mul_f32_e32 v79, v8, v81
	v_mul_f32_e32 v5, v6, v81
	v_fmac_f32_e32 v79, v6, v80
	v_fma_f32 v80, v8, v80, -v5
	v_mul_f32_e32 v81, v29, v83
	v_mul_f32_e32 v5, v17, v83
	v_fmac_f32_e32 v81, v17, v82
	v_fma_f32 v17, v29, v82, -v5
	;; [unrolled: 4-line block ×3, first 2 shown]
	v_add_f32_e32 v5, v65, v38
	v_add_f32_e32 v7, v14, v49
	;; [unrolled: 1-line block ×4, first 2 shown]
	v_sub_f32_e32 v8, v51, v20
	v_sub_f32_e32 v12, v33, v24
	;; [unrolled: 1-line block ×5, first 2 shown]
	v_add_f32_e32 v11, v11, v30
	v_sub_f32_e32 v6, v16, v31
	v_add_f32_e32 v83, v12, v8
	v_sub_f32_e32 v84, v12, v8
	;; [unrolled: 2-line block ×3, first 2 shown]
	v_sub_f32_e32 v8, v8, v6
	v_add_f32_e32 v6, v83, v6
	v_mul_f32_e32 v5, 0x3f4a47b2, v5
	v_mul_f32_e32 v30, 0x3d64c772, v7
	;; [unrolled: 1-line block ×3, first 2 shown]
	v_mov_b32_e32 v85, v13
	v_mul_f32_e32 v84, 0xbf5ff5aa, v8
	v_fmac_f32_e32 v85, 0xbf955555, v11
	v_fma_f32 v11, v82, s7, -v30
	v_fma_f32 v30, v82, s8, -v5
	v_fmac_f32_e32 v5, 0x3d64c772, v7
	v_fma_f32 v7, v8, s6, -v83
	v_fmac_f32_e32 v83, 0xbeae86e6, v12
	v_fma_f32 v8, v12, s9, -v84
	v_add_f32_e32 v5, v5, v85
	v_add_f32_e32 v11, v11, v85
	v_fmac_f32_e32 v83, 0xbee1c552, v6
	v_fmac_f32_e32 v7, 0xbee1c552, v6
	;; [unrolled: 1-line block ×3, first 2 shown]
	v_add_f32_e32 v6, v83, v5
	v_sub_f32_e32 v82, v11, v7
	v_add_f32_e32 v7, v7, v11
	v_sub_f32_e32 v5, v5, v83
	v_add_f32_e32 v11, v47, v39
	v_add_f32_e32 v83, v27, v50
	;; [unrolled: 1-line block ×5, first 2 shown]
	v_sub_f32_e32 v84, v52, v21
	v_sub_f32_e32 v86, v34, v25
	;; [unrolled: 1-line block ×5, first 2 shown]
	v_add_f32_e32 v85, v85, v87
	v_add_f32_e32 v30, v8, v12
	v_sub_f32_e32 v8, v12, v8
	v_sub_f32_e32 v12, v45, v32
	v_add_f32_e32 v89, v86, v84
	v_sub_f32_e32 v93, v86, v84
	v_add_f32_e32 v87, v61, v85
	v_sub_f32_e32 v86, v12, v86
	v_sub_f32_e32 v84, v84, v12
	v_add_f32_e32 v12, v89, v12
	v_mul_f32_e32 v11, 0x3f4a47b2, v11
	v_mul_f32_e32 v61, 0x3d64c772, v83
	;; [unrolled: 1-line block ×3, first 2 shown]
	v_mov_b32_e32 v94, v87
	v_mul_f32_e32 v93, 0xbf5ff5aa, v84
	v_fmac_f32_e32 v94, 0xbf955555, v85
	v_fma_f32 v61, v88, s7, -v61
	v_fma_f32 v85, v88, s8, -v11
	v_fmac_f32_e32 v11, 0x3d64c772, v83
	v_fma_f32 v83, v84, s6, -v89
	v_fmac_f32_e32 v89, 0xbeae86e6, v86
	v_fma_f32 v84, v86, s9, -v93
	v_add_f32_e32 v11, v11, v94
	v_add_f32_e32 v61, v61, v94
	v_fmac_f32_e32 v89, 0xbee1c552, v12
	v_fmac_f32_e32 v83, 0xbee1c552, v12
	;; [unrolled: 1-line block ×3, first 2 shown]
	v_add_f32_e32 v12, v89, v11
	v_sub_f32_e32 v88, v61, v83
	v_add_f32_e32 v83, v83, v61
	v_sub_f32_e32 v11, v11, v89
	v_add_f32_e32 v61, v48, v40
	v_add_f32_e32 v89, v28, v37
	;; [unrolled: 1-line block ×6, first 2 shown]
	v_sub_f32_e32 v84, v85, v84
	v_sub_f32_e32 v85, v46, v72
	;; [unrolled: 1-line block ×6, first 2 shown]
	v_add_f32_e32 v94, v94, v96
	v_add_f32_e32 v98, v95, v93
	v_sub_f32_e32 v99, v95, v93
	v_sub_f32_e32 v93, v93, v85
	v_add_f32_e32 v96, v59, v94
	v_sub_f32_e32 v95, v85, v95
	v_add_f32_e32 v85, v98, v85
	v_mul_f32_e32 v59, 0x3f4a47b2, v61
	v_mul_f32_e32 v98, 0x3f08b237, v99
	;; [unrolled: 1-line block ×3, first 2 shown]
	v_mov_b32_e32 v100, v96
	v_mul_f32_e32 v61, 0x3d64c772, v89
	v_fmac_f32_e32 v100, 0xbf955555, v94
	v_fma_f32 v94, v97, s8, -v59
	v_fmac_f32_e32 v59, 0x3d64c772, v89
	v_fma_f32 v89, v93, s6, -v98
	;; [unrolled: 2-line block ×3, first 2 shown]
	v_fma_f32 v61, v97, s7, -v61
	v_add_f32_e32 v59, v59, v100
	v_add_f32_e32 v94, v94, v100
	v_fmac_f32_e32 v98, 0xbee1c552, v85
	v_fmac_f32_e32 v93, 0xbee1c552, v85
	v_add_f32_e32 v61, v61, v100
	v_fmac_f32_e32 v89, 0xbee1c552, v85
	v_add_f32_e32 v85, v98, v59
	v_add_f32_e32 v95, v93, v94
	v_sub_f32_e32 v93, v94, v93
	v_sub_f32_e32 v94, v59, v98
	v_mov_b32_e32 v59, 0x460
	v_sub_f32_e32 v97, v61, v89
	v_add_f32_e32 v89, v89, v61
	v_cndmask_b32_e64 v59, 0, v59, s[2:3]
	v_lshlrev_b32_e32 v61, 2, v66
	v_add3_u32 v59, 0, v59, v61
	ds_write2_b32 v59, v13, v6 offset1:40
	ds_write2_b32 v59, v30, v82 offset0:80 offset1:120
	ds_write2_b32 v59, v7, v8 offset0:160 offset1:200
	ds_write_b32 v59, v5 offset:960
	v_mov_b32_e32 v6, 2
	v_mul_u32_u24_e32 v5, 0x460, v73
	v_lshlrev_b32_sdwa v7, v6, v74 dst_sel:DWORD dst_unused:UNUSED_PAD src0_sel:DWORD src1_sel:BYTE_0
	v_add3_u32 v61, 0, v5, v7
	v_mul_u32_u24_e32 v5, 0x460, v90
	v_lshlrev_b32_sdwa v6, v6, v91 dst_sel:DWORD dst_unused:UNUSED_PAD src0_sel:DWORD src1_sel:BYTE_0
	v_add3_u32 v66, 0, v5, v6
	v_lshl_add_u32 v13, v92, 2, 0
	ds_write2_b32 v61, v87, v12 offset1:40
	ds_write2_b32 v61, v86, v88 offset0:80 offset1:120
	ds_write2_b32 v61, v83, v84 offset0:160 offset1:200
	ds_write_b32 v61, v11 offset:960
	ds_write2_b32 v66, v96, v85 offset1:40
	ds_write2_b32 v66, v95, v97 offset0:80 offset1:120
	ds_write2_b32 v66, v89, v93 offset0:160 offset1:200
	ds_write_b32 v66, v94 offset:960
	s_and_saveexec_b64 s[2:3], s[0:1]
	s_cbranch_execz .LBB0_41
; %bb.40:
	v_add_f32_e32 v5, v75, v29
	v_add_f32_e32 v6, v10, v79
	v_sub_f32_e32 v7, v5, v6
	v_mul_f32_e32 v7, 0x3f4a47b2, v7
	v_add_f32_e32 v8, v9, v81
	v_sub_f32_e32 v11, v6, v8
	v_mov_b32_e32 v30, v7
	v_mul_f32_e32 v12, 0x3d64c772, v11
	v_fmac_f32_e32 v30, 0x3d64c772, v11
	v_add_f32_e32 v11, v8, v5
	v_add_f32_e32 v6, v6, v11
	;; [unrolled: 1-line block ×3, first 2 shown]
	v_mov_b32_e32 v57, v11
	v_sub_f32_e32 v73, v80, v78
	v_sub_f32_e32 v82, v77, v17
	v_fmac_f32_e32 v57, 0xbf955555, v6
	v_sub_f32_e32 v83, v73, v82
	v_add_f32_e32 v6, v30, v57
	v_sub_f32_e32 v30, v76, v18
	v_mul_f32_e32 v83, 0x3f08b237, v83
	v_sub_f32_e32 v74, v30, v73
	v_mov_b32_e32 v84, v83
	v_add_f32_e32 v73, v73, v82
	v_sub_f32_e32 v5, v8, v5
	v_sub_f32_e32 v8, v82, v30
	v_fmac_f32_e32 v84, 0xbeae86e6, v74
	v_add_f32_e32 v73, v73, v30
	v_fma_f32 v7, v5, s8, -v7
	v_mul_f32_e32 v30, 0xbf5ff5aa, v8
	v_fma_f32 v8, v8, s6, -v83
	v_fma_f32 v5, v5, s7, -v12
	v_fmac_f32_e32 v84, 0xbee1c552, v73
	v_fma_f32 v30, v74, s9, -v30
	v_fmac_f32_e32 v8, 0xbee1c552, v73
	v_add_f32_e32 v5, v5, v57
	v_sub_f32_e32 v85, v6, v84
	v_add_f32_e32 v7, v7, v57
	v_fmac_f32_e32 v30, 0xbee1c552, v73
	v_add_f32_e32 v12, v8, v5
	v_sub_f32_e32 v5, v5, v8
	v_add_f32_e32 v6, v84, v6
	v_add_u32_e32 v8, 0x1000, v13
	v_sub_f32_e32 v74, v7, v30
	v_add_f32_e32 v7, v30, v7
	ds_write2_b32 v8, v11, v6 offset0:96 offset1:136
	ds_write2_b32 v8, v7, v5 offset0:176 offset1:216
	v_add_u32_e32 v5, 0x1400, v13
	ds_write2_b32 v5, v12, v74 offset1:40
	ds_write_b32 v13, v85 offset:5440
.LBB0_41:
	s_or_b64 exec, exec, s[2:3]
	v_add_f32_e32 v5, v16, v31
	v_add_f32_e32 v7, v51, v20
	v_sub_f32_e32 v8, v14, v49
	v_add_f32_e32 v11, v24, v33
	v_add_f32_e32 v14, v7, v5
	v_sub_f32_e32 v12, v42, v35
	v_sub_f32_e32 v16, v7, v5
	;; [unrolled: 1-line block ×4, first 2 shown]
	v_add_f32_e32 v11, v11, v14
	v_sub_f32_e32 v6, v65, v38
	v_add_f32_e32 v20, v12, v8
	v_sub_f32_e32 v24, v12, v8
	;; [unrolled: 2-line block ×3, first 2 shown]
	v_sub_f32_e32 v8, v8, v6
	v_add_f32_e32 v6, v20, v6
	v_mul_f32_e32 v5, 0x3f4a47b2, v5
	v_mul_f32_e32 v15, 0x3d64c772, v7
	;; [unrolled: 1-line block ×3, first 2 shown]
	v_mov_b32_e32 v30, v14
	v_fmac_f32_e32 v30, 0xbf955555, v11
	v_fma_f32 v11, v16, s7, -v15
	v_fma_f32 v15, v16, s8, -v5
	v_fmac_f32_e32 v5, 0x3d64c772, v7
	v_fma_f32 v7, v8, s6, -v20
	v_fmac_f32_e32 v20, 0xbeae86e6, v12
	v_mul_f32_e32 v24, 0xbf5ff5aa, v8
	v_add_f32_e32 v5, v5, v30
	v_add_f32_e32 v11, v11, v30
	v_fmac_f32_e32 v20, 0xbee1c552, v6
	v_fmac_f32_e32 v7, 0xbee1c552, v6
	v_fma_f32 v8, v12, s9, -v24
	v_sub_f32_e32 v24, v5, v20
	v_add_f32_e32 v42, v7, v11
	v_sub_f32_e32 v49, v11, v7
	v_add_f32_e32 v57, v20, v5
	v_add_f32_e32 v5, v45, v32
	;; [unrolled: 1-line block ×4, first 2 shown]
	v_fmac_f32_e32 v8, 0xbee1c552, v6
	v_add_f32_e32 v11, v25, v34
	v_add_f32_e32 v15, v7, v5
	v_sub_f32_e32 v38, v12, v8
	v_add_f32_e32 v51, v8, v12
	v_sub_f32_e32 v8, v27, v50
	v_sub_f32_e32 v12, v43, v36
	;; [unrolled: 1-line block ×5, first 2 shown]
	v_add_f32_e32 v11, v11, v15
	v_sub_f32_e32 v6, v47, v39
	v_add_f32_e32 v20, v12, v8
	v_sub_f32_e32 v21, v12, v8
	;; [unrolled: 2-line block ×3, first 2 shown]
	v_sub_f32_e32 v8, v8, v6
	v_add_f32_e32 v6, v20, v6
	v_mul_f32_e32 v5, 0x3f4a47b2, v5
	v_mul_f32_e32 v15, 0x3d64c772, v7
	v_mul_f32_e32 v20, 0x3f08b237, v21
	v_mov_b32_e32 v25, v27
	v_fmac_f32_e32 v25, 0xbf955555, v11
	v_fma_f32 v11, v16, s7, -v15
	v_fma_f32 v15, v16, s8, -v5
	v_fmac_f32_e32 v5, 0x3d64c772, v7
	v_fma_f32 v7, v8, s6, -v20
	v_fmac_f32_e32 v20, 0xbeae86e6, v12
	v_mul_f32_e32 v21, 0xbf5ff5aa, v8
	v_add_f32_e32 v5, v5, v25
	v_add_f32_e32 v11, v11, v25
	v_fmac_f32_e32 v20, 0xbee1c552, v6
	v_fmac_f32_e32 v7, 0xbee1c552, v6
	v_fma_f32 v8, v12, s9, -v21
	v_sub_f32_e32 v21, v5, v20
	v_add_f32_e32 v43, v7, v11
	v_sub_f32_e32 v50, v11, v7
	v_add_f32_e32 v64, v20, v5
	v_add_f32_e32 v5, v46, v72
	;; [unrolled: 1-line block ×4, first 2 shown]
	v_fmac_f32_e32 v8, 0xbee1c552, v6
	v_add_f32_e32 v11, v26, v19
	v_add_f32_e32 v15, v7, v5
	v_sub_f32_e32 v39, v12, v8
	v_add_f32_e32 v52, v8, v12
	v_sub_f32_e32 v8, v28, v37
	v_sub_f32_e32 v12, v44, v23
	;; [unrolled: 1-line block ×5, first 2 shown]
	v_add_f32_e32 v11, v11, v15
	v_sub_f32_e32 v6, v48, v40
	v_add_f32_e32 v19, v12, v8
	v_sub_f32_e32 v20, v12, v8
	;; [unrolled: 2-line block ×3, first 2 shown]
	v_sub_f32_e32 v8, v8, v6
	v_add_f32_e32 v6, v19, v6
	v_mul_f32_e32 v5, 0x3f4a47b2, v5
	v_mul_f32_e32 v15, 0x3d64c772, v7
	;; [unrolled: 1-line block ×3, first 2 shown]
	v_mov_b32_e32 v23, v22
	v_mul_f32_e32 v20, 0xbf5ff5aa, v8
	v_fmac_f32_e32 v23, 0xbf955555, v11
	v_fma_f32 v11, v16, s7, -v15
	v_fma_f32 v15, v16, s8, -v5
	v_fmac_f32_e32 v5, 0x3d64c772, v7
	v_fma_f32 v7, v8, s6, -v19
	v_fmac_f32_e32 v19, 0xbeae86e6, v12
	v_fma_f32 v8, v12, s9, -v20
	v_add_f32_e32 v5, v5, v23
	v_add_f32_e32 v11, v11, v23
	v_fmac_f32_e32 v19, 0xbee1c552, v6
	v_fmac_f32_e32 v7, 0xbee1c552, v6
	v_add_f32_e32 v12, v15, v23
	v_fmac_f32_e32 v8, 0xbee1c552, v6
	v_sub_f32_e32 v28, v5, v19
	v_add_f32_e32 v40, v7, v11
	v_sub_f32_e32 v41, v11, v7
	v_add_f32_e32 v65, v19, v5
	v_add_u32_e32 v23, 0xc00, v0
	v_add_u32_e32 v19, 0x1000, v0
	;; [unrolled: 1-line block ×4, first 2 shown]
	v_sub_f32_e32 v37, v12, v8
	v_add_f32_e32 v63, v8, v12
	s_waitcnt lgkmcnt(0)
	; wave barrier
	s_waitcnt lgkmcnt(0)
	ds_read_b32 v45, v56
	ds_read2_b32 v[5:6], v23 offset0:72 offset1:128
	ds_read2_b32 v[7:8], v19 offset0:40 offset1:96
	;; [unrolled: 1-line block ×6, first 2 shown]
	ds_read_b32 v44, v0
	ds_read_b32 v47, v53
	;; [unrolled: 1-line block ×4, first 2 shown]
	ds_read2_b32 v[30:31], v30 offset0:192 offset1:248
	v_add_u32_e32 v23, 0xa00, v0
	ds_read2_b32 v[34:35], v23 offset0:88 offset1:144
	v_add_u32_e32 v23, 0x1400, v0
	ds_read2_b32 v[32:33], v23 offset0:8 offset1:64
	ds_read_b32 v46, v54
	ds_read_b32 v23, v62
	s_waitcnt lgkmcnt(0)
	; wave barrier
	s_waitcnt lgkmcnt(0)
	ds_write2_b32 v59, v14, v24 offset1:40
	ds_write2_b32 v59, v38, v42 offset0:80 offset1:120
	ds_write2_b32 v59, v49, v51 offset0:160 offset1:200
	ds_write_b32 v59, v57 offset:960
	ds_write2_b32 v61, v27, v21 offset1:40
	ds_write2_b32 v61, v39, v43 offset0:80 offset1:120
	ds_write2_b32 v61, v50, v52 offset0:160 offset1:200
	ds_write_b32 v61, v64 offset:960
	;; [unrolled: 4-line block ×3, first 2 shown]
	s_and_saveexec_b64 s[2:3], s[0:1]
	s_cbranch_execz .LBB0_43
; %bb.42:
	v_add_f32_e32 v14, v76, v18
	v_add_f32_e32 v17, v77, v17
	;; [unrolled: 1-line block ×4, first 2 shown]
	v_sub_f32_e32 v9, v9, v81
	v_sub_f32_e32 v10, v79, v10
	;; [unrolled: 1-line block ×5, first 2 shown]
	v_add_f32_e32 v21, v21, v22
	v_sub_f32_e32 v18, v75, v29
	v_add_f32_e32 v27, v10, v9
	v_add_f32_e32 v22, v58, v21
	v_sub_f32_e32 v28, v10, v9
	v_sub_f32_e32 v10, v18, v10
	;; [unrolled: 1-line block ×3, first 2 shown]
	v_add_f32_e32 v18, v27, v18
	v_mul_f32_e32 v27, 0x3d64c772, v17
	v_mov_b32_e32 v37, v22
	s_mov_b32 s1, 0x3f3bfb3b
	v_mul_f32_e32 v14, 0x3f4a47b2, v14
	v_mul_f32_e32 v28, 0x3f08b237, v28
	s_mov_b32 s0, 0xbf5ff5aa
	v_fmac_f32_e32 v37, 0xbf955555, v21
	v_fma_f32 v21, v24, s1, -v27
	s_mov_b32 s1, 0xbf3bfb3b
	v_mul_f32_e32 v29, 0xbf5ff5aa, v9
	v_fma_f32 v24, v24, s1, -v14
	v_fmac_f32_e32 v14, 0x3d64c772, v17
	v_fma_f32 v9, v9, s0, -v28
	v_fmac_f32_e32 v28, 0xbeae86e6, v10
	s_mov_b32 s0, 0x3eae86e6
	v_fma_f32 v10, v10, s0, -v29
	v_add_f32_e32 v14, v14, v37
	v_add_f32_e32 v17, v21, v37
	v_fmac_f32_e32 v28, 0xbee1c552, v18
	v_fmac_f32_e32 v9, 0xbee1c552, v18
	v_add_f32_e32 v21, v24, v37
	v_fmac_f32_e32 v10, 0xbee1c552, v18
	v_sub_f32_e32 v18, v14, v28
	v_add_f32_e32 v27, v9, v17
	v_sub_f32_e32 v9, v17, v9
	v_add_u32_e32 v17, 0x1000, v13
	v_sub_f32_e32 v24, v21, v10
	v_add_f32_e32 v10, v10, v21
	ds_write2_b32 v17, v22, v18 offset0:96 offset1:136
	ds_write2_b32 v17, v24, v27 offset0:176 offset1:216
	v_add_u32_e32 v17, 0x1400, v13
	v_add_f32_e32 v14, v28, v14
	ds_write2_b32 v17, v9, v10 offset1:40
	ds_write_b32 v13, v14 offset:5440
.LBB0_43:
	s_or_b64 exec, exec, s[2:3]
	s_waitcnt lgkmcnt(0)
	; wave barrier
	s_waitcnt lgkmcnt(0)
	s_and_saveexec_b64 s[0:1], vcc
	s_cbranch_execz .LBB0_45
; %bb.44:
	v_lshlrev_b32_e32 v28, 2, v71
	v_mov_b32_e32 v29, 0
	v_lshlrev_b64 v[9:10], 3, v[28:29]
	v_mov_b32_e32 v49, s13
	v_add_co_u32_e32 v9, vcc, s12, v9
	v_addc_co_u32_e32 v10, vcc, v49, v10, vcc
	global_load_dwordx4 v[40:43], v[9:10], off offset:2224
	global_load_dwordx4 v[63:66], v[9:10], off offset:2240
	v_add_u32_e32 v9, 0xa00, v0
	v_lshlrev_b32_e32 v28, 2, v70
	v_add_u32_e32 v38, 0x400, v0
	ds_read_b32 v84, v54
	ds_read_b32 v85, v56
	;; [unrolled: 1-line block ×4, first 2 shown]
	ds_read2_b32 v[50:51], v38 offset0:192 offset1:248
	ds_read2_b32 v[78:79], v9 offset0:88 offset1:144
	v_lshlrev_b64 v[9:10], 3, v[28:29]
	v_add_u32_e32 v17, 0x1400, v0
	v_add_co_u32_e32 v9, vcc, s12, v9
	v_addc_co_u32_e32 v10, vcc, v49, v10, vcc
	v_mul_lo_u32 v13, s5, v3
	v_mul_lo_u32 v14, s4, v4
	v_mad_u64_u32 v[3:4], s[0:1], s4, v3, 0
	v_add_u32_e32 v39, 0x1000, v0
	global_load_dwordx4 v[56:59], v[9:10], off offset:2240
	global_load_dwordx4 v[70:73], v[9:10], off offset:2224
	ds_read2_b32 v[80:81], v17 offset0:8 offset1:64
	ds_read2_b32 v[82:83], v39 offset0:40 offset1:96
	v_add3_u32 v4, v4, v14, v13
	s_mov_b32 s0, 0xea0ea0f
	v_lshlrev_b64 v[3:4], 3, v[3:4]
	s_movk_i32 s1, 0x578
	s_waitcnt vmcnt(3)
	v_mul_f32_e32 v10, v35, v43
	s_waitcnt vmcnt(2)
	v_mul_f32_e32 v14, v7, v64
	s_waitcnt lgkmcnt(2)
	v_fma_f32 v52, v42, v79, -v10
	s_waitcnt lgkmcnt(0)
	v_fma_f32 v60, v63, v82, -v14
	v_mul_f32_e32 v27, v51, v41
	v_mul_f32_e32 v28, v81, v66
	v_add_f32_e32 v10, v52, v60
	v_mul_f32_e32 v9, v31, v41
	v_mul_f32_e32 v13, v33, v66
	;; [unrolled: 1-line block ×4, first 2 shown]
	v_fmac_f32_e32 v27, v31, v40
	v_fmac_f32_e32 v28, v33, v65
	v_fma_f32 v22, -0.5, v10, v24
	v_fma_f32 v51, v40, v51, -v9
	v_fma_f32 v54, v65, v81, -v13
	v_fmac_f32_e32 v41, v35, v42
	v_fmac_f32_e32 v43, v7, v63
	v_sub_f32_e32 v31, v27, v28
	v_mov_b32_e32 v10, v22
	v_sub_f32_e32 v7, v51, v52
	v_sub_f32_e32 v9, v54, v60
	;; [unrolled: 1-line block ×3, first 2 shown]
	v_fmac_f32_e32 v10, 0xbf737871, v31
	v_fmac_f32_e32 v22, 0x3f737871, v31
	v_add_f32_e32 v7, v7, v9
	v_fmac_f32_e32 v10, 0xbf167918, v33
	v_fmac_f32_e32 v22, 0x3f167918, v33
	;; [unrolled: 1-line block ×4, first 2 shown]
	v_add_f32_e32 v7, v51, v24
	v_add_f32_e32 v7, v52, v7
	v_sub_f32_e32 v18, v52, v51
	v_sub_f32_e32 v42, v60, v54
	v_add_f32_e32 v61, v51, v54
	v_add_f32_e32 v7, v60, v7
	;; [unrolled: 1-line block ×3, first 2 shown]
	v_fma_f32 v18, -0.5, v61, v24
	v_add_f32_e32 v24, v54, v7
	v_add_f32_e32 v7, v23, v27
	;; [unrolled: 1-line block ×6, first 2 shown]
	v_sub_f32_e32 v14, v28, v43
	v_sub_f32_e32 v63, v43, v28
	v_fma_f32 v21, -0.5, v17, v23
	v_fma_f32 v17, -0.5, v64, v23
	v_add_f32_e32 v23, v28, v7
	v_lshlrev_b32_e32 v28, 2, v69
	v_sub_f32_e32 v13, v27, v41
	v_sub_f32_e32 v62, v41, v27
	v_lshlrev_b64 v[27:28], 3, v[28:29]
	v_sub_f32_e32 v40, v52, v60
	v_add_f32_e32 v65, v13, v14
	v_mov_b32_e32 v13, v17
	v_sub_f32_e32 v35, v51, v54
	v_fmac_f32_e32 v13, 0xbf737871, v40
	v_fmac_f32_e32 v17, 0x3f737871, v40
	v_add_co_u32_e32 v27, vcc, s12, v27
	v_add_f32_e32 v61, v62, v63
	v_fmac_f32_e32 v13, 0x3f167918, v35
	v_fmac_f32_e32 v17, 0xbf167918, v35
	v_addc_co_u32_e32 v28, vcc, v49, v28, vcc
	v_fmac_f32_e32 v13, 0x3e9e377a, v61
	v_fmac_f32_e32 v17, 0x3e9e377a, v61
	global_load_dwordx4 v[60:63], v[27:28], off offset:2240
	global_load_dwordx4 v[74:77], v[27:28], off offset:2224
	v_mov_b32_e32 v9, v21
	v_fmac_f32_e32 v9, 0x3f737871, v35
	v_fmac_f32_e32 v21, 0xbf737871, v35
	v_add_u32_e32 v66, 0xc00, v0
	v_fmac_f32_e32 v9, 0x3f167918, v40
	v_fmac_f32_e32 v21, 0xbf167918, v40
	ds_read2_b32 v[40:41], v66 offset0:184 offset1:240
	v_mov_b32_e32 v14, v18
	v_fmac_f32_e32 v18, 0xbf737871, v33
	v_fmac_f32_e32 v14, 0x3f737871, v33
	v_fmac_f32_e32 v14, 0xbf167918, v31
	v_fmac_f32_e32 v18, 0x3f167918, v31
	s_waitcnt vmcnt(3)
	v_mul_f32_e32 v31, v26, v57
	v_fmac_f32_e32 v14, 0x3e9e377a, v42
	v_fmac_f32_e32 v18, 0x3e9e377a, v42
	s_waitcnt vmcnt(2)
	v_mul_f32_e32 v27, v30, v71
	s_waitcnt lgkmcnt(0)
	v_fma_f32 v42, v56, v41, -v31
	v_mul_f32_e32 v31, v32, v59
	v_mul_f32_e32 v7, v34, v73
	v_fma_f32 v28, v70, v50, -v27
	v_fma_f32 v43, v58, v80, -v31
	v_mul_f32_e32 v52, v78, v73
	v_mul_f32_e32 v41, v41, v57
	ds_read_b32 v81, v55
	v_mul_f32_e32 v50, v50, v71
	v_mul_f32_e32 v55, v80, v59
	v_fma_f32 v7, v72, v78, -v7
	v_fmac_f32_e32 v52, v34, v72
	v_fmac_f32_e32 v41, v26, v56
	v_add_f32_e32 v26, v28, v43
	v_fmac_f32_e32 v50, v30, v70
	v_fmac_f32_e32 v55, v32, v58
	v_sub_f32_e32 v27, v7, v28
	v_sub_f32_e32 v31, v42, v43
	v_fma_f32 v33, -0.5, v26, v37
	v_sub_f32_e32 v26, v52, v50
	v_sub_f32_e32 v30, v41, v55
	v_add_f32_e32 v51, v27, v31
	v_add_f32_e32 v57, v26, v30
	v_sub_f32_e32 v58, v28, v43
	v_sub_f32_e32 v30, v28, v7
	;; [unrolled: 1-line block ×3, first 2 shown]
	v_add_f32_e32 v28, v28, v37
	v_sub_f32_e32 v59, v7, v42
	v_add_f32_e32 v64, v30, v31
	v_add_f32_e32 v30, v7, v42
	;; [unrolled: 1-line block ×4, first 2 shown]
	v_fma_f32 v31, -0.5, v30, v37
	v_add_f32_e32 v37, v43, v7
	v_add_f32_e32 v7, v36, v50
	v_sub_f32_e32 v30, v50, v52
	v_sub_f32_e32 v34, v55, v41
	v_add_f32_e32 v7, v52, v7
	v_add_f32_e32 v26, v50, v55
	;; [unrolled: 1-line block ×5, first 2 shown]
	v_fma_f32 v32, -0.5, v26, v36
	v_fma_f32 v30, -0.5, v30, v36
	v_add_f32_e32 v36, v7, v55
	v_add_u32_e32 v7, 0x800, v0
	ds_read2_b32 v[72:73], v7 offset0:104 offset1:160
	v_sub_f32_e32 v56, v50, v55
	v_mov_b32_e32 v35, v31
	v_sub_f32_e32 v54, v52, v41
	v_fmac_f32_e32 v35, 0x3f737871, v56
	v_fmac_f32_e32 v31, 0xbf737871, v56
	;; [unrolled: 1-line block ×8, first 2 shown]
	ds_read2_b32 v[64:65], v38 offset0:80 offset1:136
	ds_read2_b32 v[78:79], v39 offset0:152 offset1:208
	v_mov_b32_e32 v26, v32
	v_mov_b32_e32 v34, v30
	;; [unrolled: 1-line block ×3, first 2 shown]
	s_waitcnt vmcnt(0)
	v_mul_f32_e32 v28, v12, v77
	s_waitcnt lgkmcnt(2)
	v_fma_f32 v50, v76, v73, -v28
	v_lshlrev_b32_e32 v28, 2, v68
	v_lshlrev_b64 v[38:39], 3, v[28:29]
	v_fmac_f32_e32 v26, 0xbf737871, v59
	v_fmac_f32_e32 v34, 0xbf737871, v58
	;; [unrolled: 1-line block ×4, first 2 shown]
	v_add_co_u32_e32 v38, vcc, s12, v38
	v_fmac_f32_e32 v27, 0x3f737871, v54
	v_fmac_f32_e32 v26, 0x3f167918, v58
	;; [unrolled: 1-line block ×6, first 2 shown]
	v_addc_co_u32_e32 v39, vcc, v49, v39, vcc
	s_waitcnt lgkmcnt(1)
	v_mul_f32_e32 v59, v65, v75
	v_fmac_f32_e32 v27, 0xbf167918, v56
	v_fmac_f32_e32 v26, 0x3e9e377a, v57
	;; [unrolled: 1-line block ×6, first 2 shown]
	v_mul_f32_e32 v7, v16, v75
	v_mul_f32_e32 v42, v20, v63
	global_load_dwordx4 v[54:57], v[38:39], off offset:2240
	global_load_dwordx4 v[68:71], v[38:39], off offset:2224
	v_mul_f32_e32 v38, v25, v61
	v_fmac_f32_e32 v59, v16, v74
	s_waitcnt lgkmcnt(0)
	v_mul_f32_e32 v16, v79, v63
	v_fmac_f32_e32 v27, 0x3e9e377a, v51
	v_fmac_f32_e32 v33, 0x3e9e377a, v51
	v_fma_f32 v7, v74, v65, -v7
	v_fma_f32 v28, v62, v79, -v42
	;; [unrolled: 1-line block ×3, first 2 shown]
	v_fmac_f32_e32 v16, v20, v62
	v_mul_f32_e32 v62, v73, v77
	v_sub_f32_e32 v41, v7, v50
	v_sub_f32_e32 v38, v28, v51
	v_fmac_f32_e32 v62, v12, v76
	v_mul_f32_e32 v12, v40, v61
	v_add_f32_e32 v58, v41, v38
	v_add_f32_e32 v38, v50, v51
	v_fmac_f32_e32 v12, v25, v60
	v_fma_f32 v43, -0.5, v38, v81
	v_sub_f32_e32 v38, v59, v62
	v_sub_f32_e32 v40, v16, v12
	v_add_f32_e32 v60, v38, v40
	v_sub_f32_e32 v40, v50, v7
	v_sub_f32_e32 v41, v51, v28
	;; [unrolled: 1-line block ×3, first 2 shown]
	v_add_f32_e32 v73, v40, v41
	v_add_f32_e32 v40, v7, v28
	;; [unrolled: 1-line block ×6, first 2 shown]
	v_fma_f32 v41, -0.5, v40, v81
	v_sub_f32_e32 v40, v62, v59
	v_sub_f32_e32 v52, v12, v16
	v_add_f32_e32 v63, v28, v7
	v_lshlrev_b32_e32 v28, 2, v67
	v_fma_f32 v42, -0.5, v38, v48
	v_add_f32_e32 v74, v40, v52
	v_add_f32_e32 v40, v59, v16
	v_lshlrev_b64 v[28:29], 3, v[28:29]
	v_sub_f32_e32 v20, v59, v16
	v_mov_b32_e32 v39, v43
	v_mov_b32_e32 v38, v42
	v_fma_f32 v40, -0.5, v40, v48
	v_fmac_f32_e32 v39, 0xbf737871, v20
	v_sub_f32_e32 v25, v62, v12
	v_fmac_f32_e32 v38, 0x3f737871, v61
	v_sub_f32_e32 v65, v50, v51
	v_mov_b32_e32 v52, v40
	v_fmac_f32_e32 v43, 0x3f737871, v20
	v_fmac_f32_e32 v42, 0xbf737871, v61
	v_add_co_u32_e32 v28, vcc, s12, v28
	v_fmac_f32_e32 v39, 0xbf167918, v25
	v_fmac_f32_e32 v38, 0x3f167918, v65
	;; [unrolled: 1-line block ×6, first 2 shown]
	v_addc_co_u32_e32 v29, vcc, v49, v29, vcc
	ds_read_b32 v80, v53
	v_fmac_f32_e32 v39, 0x3e9e377a, v58
	v_fmac_f32_e32 v38, 0x3e9e377a, v60
	;; [unrolled: 1-line block ×5, first 2 shown]
	v_add_f32_e32 v7, v48, v59
	v_fmac_f32_e32 v40, 0x3f167918, v61
	global_load_dwordx4 v[48:51], v[28:29], off offset:2240
	global_load_dwordx4 v[58:61], v[28:29], off offset:2224
	ds_read2_b32 v[28:29], v66 offset0:72 offset1:128
	v_add_f32_e32 v7, v7, v62
	v_mov_b32_e32 v53, v41
	v_add_f32_e32 v7, v7, v12
	v_fmac_f32_e32 v53, 0xbf737871, v25
	v_add_f32_e32 v62, v16, v7
	v_fmac_f32_e32 v41, 0x3f737871, v25
	v_fmac_f32_e32 v53, 0x3f167918, v20
	v_fmac_f32_e32 v41, 0xbf167918, v20
	s_waitcnt vmcnt(3)
	v_mul_f32_e32 v12, v19, v57
	s_waitcnt vmcnt(2)
	v_mul_f32_e32 v7, v15, v69
	v_fma_f32 v25, v68, v64, -v7
	v_fma_f32 v66, v56, v78, -v12
	v_mul_f32_e32 v12, v6, v55
	v_mul_f32_e32 v64, v64, v69
	v_fmac_f32_e32 v53, 0x3e9e377a, v73
	v_fmac_f32_e32 v41, 0x3e9e377a, v73
	s_waitcnt lgkmcnt(0)
	v_fma_f32 v73, v54, v29, -v12
	v_fmac_f32_e32 v64, v15, v68
	v_mul_f32_e32 v57, v78, v57
	v_mul_f32_e32 v68, v72, v71
	;; [unrolled: 1-line block ×3, first 2 shown]
	v_fmac_f32_e32 v57, v19, v56
	v_fmac_f32_e32 v68, v11, v70
	;; [unrolled: 1-line block ×3, first 2 shown]
	v_mul_f32_e32 v7, v11, v71
	v_sub_f32_e32 v6, v64, v68
	v_sub_f32_e32 v11, v57, v29
	v_fma_f32 v65, v70, v72, -v7
	v_add_f32_e32 v55, v6, v11
	v_add_f32_e32 v6, v68, v29
	v_fma_f32 v6, -0.5, v6, v47
	v_sub_f32_e32 v15, v65, v25
	v_sub_f32_e32 v16, v73, v66
	;; [unrolled: 1-line block ×4, first 2 shown]
	v_mov_b32_e32 v11, v6
	v_add_f32_e32 v71, v15, v16
	v_add_f32_e32 v15, v25, v66
	;; [unrolled: 1-line block ×3, first 2 shown]
	v_sub_f32_e32 v12, v66, v73
	v_fmac_f32_e32 v11, 0x3f737871, v69
	v_sub_f32_e32 v70, v65, v73
	v_fmac_f32_e32 v6, 0xbf737871, v69
	v_add_f32_e32 v25, v65, v25
	v_fmac_f32_e32 v52, 0x3e9e377a, v74
	v_fmac_f32_e32 v40, 0x3e9e377a, v74
	v_add_f32_e32 v74, v7, v12
	v_add_f32_e32 v7, v65, v73
	v_fmac_f32_e32 v11, 0x3f167918, v70
	v_fmac_f32_e32 v6, 0xbf167918, v70
	v_add_f32_e32 v25, v73, v25
	v_fma_f32 v7, -0.5, v7, v80
	v_fmac_f32_e32 v11, 0x3e9e377a, v55
	v_fma_f32 v16, -0.5, v15, v80
	v_sub_f32_e32 v15, v68, v64
	v_sub_f32_e32 v19, v29, v57
	v_fmac_f32_e32 v6, 0x3e9e377a, v55
	v_add_f32_e32 v55, v66, v25
	v_add_f32_e32 v25, v47, v64
	v_sub_f32_e32 v56, v64, v57
	v_mov_b32_e32 v12, v7
	v_add_f32_e32 v72, v15, v19
	v_add_f32_e32 v15, v64, v57
	v_add_f32_e32 v25, v25, v68
	v_fmac_f32_e32 v12, 0xbf737871, v56
	v_sub_f32_e32 v54, v68, v29
	v_mov_b32_e32 v20, v16
	v_fma_f32 v15, -0.5, v15, v47
	v_fmac_f32_e32 v7, 0x3f737871, v56
	v_add_f32_e32 v25, v25, v29
	ds_read_b32 v0, v0
	v_fmac_f32_e32 v12, 0xbf167918, v54
	v_fmac_f32_e32 v20, 0x3f737871, v54
	;; [unrolled: 1-line block ×4, first 2 shown]
	v_add_f32_e32 v54, v57, v25
	v_fmac_f32_e32 v20, 0xbf167918, v56
	s_waitcnt vmcnt(1)
	v_mul_f32_e32 v47, v8, v51
	s_waitcnt vmcnt(0)
	v_mul_f32_e32 v25, v46, v59
	v_mul_f32_e32 v29, v45, v61
	v_fma_f32 v57, v50, v83, -v47
	v_mul_f32_e32 v47, v5, v49
	v_mul_f32_e32 v59, v84, v59
	v_fmac_f32_e32 v16, 0x3f167918, v56
	v_fma_f32 v25, v58, v84, -v25
	v_fma_f32 v56, v60, v85, -v29
	v_fma_f32 v64, v48, v28, -v47
	v_fmac_f32_e32 v59, v46, v58
	v_mul_f32_e32 v58, v85, v61
	v_mov_b32_e32 v19, v15
	v_sub_f32_e32 v29, v25, v56
	v_sub_f32_e32 v47, v57, v64
	v_fmac_f32_e32 v58, v45, v60
	v_mul_f32_e32 v60, v28, v49
	v_fmac_f32_e32 v19, 0xbf737871, v70
	v_fmac_f32_e32 v15, 0x3f737871, v70
	v_add_f32_e32 v65, v29, v47
	v_fmac_f32_e32 v60, v5, v48
	v_sub_f32_e32 v47, v56, v25
	v_sub_f32_e32 v48, v64, v57
	v_fmac_f32_e32 v19, 0x3f167918, v69
	v_fmac_f32_e32 v15, 0xbf167918, v69
	v_add_f32_e32 v29, v56, v64
	v_add_f32_e32 v69, v47, v48
	;; [unrolled: 1-line block ×3, first 2 shown]
	s_waitcnt lgkmcnt(0)
	v_fma_f32 v29, -0.5, v29, v0
	v_fma_f32 v48, -0.5, v47, v0
	v_add_f32_e32 v0, v25, v0
	v_sub_f32_e32 v66, v25, v57
	v_add_f32_e32 v0, v56, v0
	v_lshrrev_b32_e32 v25, 3, v67
	v_add_f32_e32 v0, v64, v0
	v_mul_hi_u32 v25, v25, s0
	v_add_f32_e32 v57, v57, v0
	v_add_f32_e32 v0, v44, v59
	v_mul_f32_e32 v51, v83, v51
	v_add_f32_e32 v0, v0, v58
	v_fmac_f32_e32 v51, v8, v50
	v_add_f32_e32 v0, v0, v60
	v_sub_f32_e32 v68, v56, v64
	v_add_f32_e32 v56, v51, v0
	v_lshrrev_b32_e32 v0, 1, v25
	v_mul_u32_u24_e32 v0, 0x118, v0
	v_sub_f32_e32 v28, v59, v58
	v_sub_f32_e32 v45, v51, v60
	;; [unrolled: 1-line block ×4, first 2 shown]
	v_sub_u32_e32 v25, v67, v0
	v_sub_f32_e32 v8, v59, v51
	v_sub_f32_e32 v5, v58, v60
	v_add_f32_e32 v61, v28, v45
	v_add_f32_e32 v28, v58, v60
	;; [unrolled: 1-line block ×4, first 2 shown]
	v_mad_u64_u32 v[58:59], s[2:3], s20, v25, 0
	v_mov_b32_e32 v46, v29
	v_mov_b32_e32 v50, v48
	v_fmac_f32_e32 v46, 0xbf737871, v8
	v_fmac_f32_e32 v50, 0xbf737871, v5
	;; [unrolled: 1-line block ×4, first 2 shown]
	v_mov_b32_e32 v0, v59
	v_fmac_f32_e32 v46, 0xbf167918, v5
	v_fmac_f32_e32 v50, 0x3f167918, v8
	;; [unrolled: 1-line block ×4, first 2 shown]
	v_mad_u64_u32 v[59:60], s[2:3], s21, v25, v[0:1]
	v_mov_b32_e32 v0, s11
	v_add_co_u32_e32 v5, vcc, s10, v3
	v_add_u32_e32 v8, 0x118, v25
	v_addc_co_u32_e32 v4, vcc, v0, v4, vcc
	v_lshlrev_b64 v[0:1], 3, v[1:2]
	v_mad_u64_u32 v[2:3], s[2:3], s20, v8, 0
	v_fma_f32 v28, -0.5, v28, v44
	v_fma_f32 v47, -0.5, v47, v44
	v_add_co_u32_e32 v44, vcc, v5, v0
	v_addc_co_u32_e32 v51, vcc, v4, v1, vcc
	v_lshlrev_b64 v[0:1], 3, v[58:59]
	v_mad_u64_u32 v[3:4], s[2:3], s21, v8, v[3:4]
	v_add_co_u32_e32 v0, vcc, v44, v0
	v_addc_co_u32_e32 v1, vcc, v51, v1, vcc
	v_add_u32_e32 v4, 0x230, v25
	global_store_dwordx2 v[0:1], v[56:57], off
	v_lshlrev_b64 v[0:1], 3, v[2:3]
	v_mad_u64_u32 v[2:3], s[2:3], s20, v4, 0
	v_add_u32_e32 v8, 0x348, v25
	v_mov_b32_e32 v45, v28
	v_mad_u64_u32 v[3:4], s[2:3], s21, v4, v[3:4]
	v_mad_u64_u32 v[4:5], s[2:3], s20, v8, 0
	v_fmac_f32_e32 v28, 0xbf737871, v66
	v_fmac_f32_e32 v28, 0xbf167918, v68
	v_add_co_u32_e32 v0, vcc, v44, v0
	v_fmac_f32_e32 v29, 0x3e9e377a, v65
	v_fmac_f32_e32 v28, 0x3e9e377a, v61
	v_addc_co_u32_e32 v1, vcc, v51, v1, vcc
	global_store_dwordx2 v[0:1], v[28:29], off
	v_lshlrev_b64 v[0:1], 3, v[2:3]
	v_mov_b32_e32 v2, v5
	v_mad_u64_u32 v[2:3], s[2:3], s21, v8, v[2:3]
	v_mov_b32_e32 v49, v47
	v_fmac_f32_e32 v49, 0x3f737871, v68
	v_fmac_f32_e32 v49, 0xbf167918, v66
	v_add_co_u32_e32 v0, vcc, v44, v0
	v_fmac_f32_e32 v50, 0x3e9e377a, v69
	v_fmac_f32_e32 v49, 0x3e9e377a, v70
	v_addc_co_u32_e32 v1, vcc, v51, v1, vcc
	v_mov_b32_e32 v5, v2
	global_store_dwordx2 v[0:1], v[49:50], off
	v_lshlrev_b64 v[0:1], 3, v[4:5]
	v_add_u32_e32 v4, 0x460, v25
	v_mad_u64_u32 v[2:3], s[2:3], s20, v4, 0
	v_fmac_f32_e32 v47, 0xbf737871, v68
	v_fmac_f32_e32 v47, 0x3f167918, v66
	v_mad_u64_u32 v[3:4], s[2:3], s21, v4, v[3:4]
	v_add_u32_e32 v4, 56, v67
	v_lshrrev_b32_e32 v5, 3, v4
	v_mul_hi_u32 v5, v5, s0
	v_add_co_u32_e32 v0, vcc, v44, v0
	v_fmac_f32_e32 v48, 0x3e9e377a, v69
	v_fmac_f32_e32 v47, 0x3e9e377a, v70
	v_addc_co_u32_e32 v1, vcc, v51, v1, vcc
	global_store_dwordx2 v[0:1], v[47:48], off
	v_lshlrev_b64 v[0:1], 3, v[2:3]
	v_lshrrev_b32_e32 v2, 1, v5
	v_mul_u32_u24_e32 v3, 0x118, v2
	v_sub_u32_e32 v3, v4, v3
	v_mad_u32_u24 v8, v2, s1, v3
	v_mad_u64_u32 v[2:3], s[2:3], s20, v8, 0
	v_add_u32_e32 v25, 0x118, v8
	v_fmac_f32_e32 v45, 0x3f737871, v66
	v_mad_u64_u32 v[3:4], s[2:3], s21, v8, v[3:4]
	v_mad_u64_u32 v[4:5], s[2:3], s20, v25, 0
	v_fmac_f32_e32 v45, 0x3f167918, v68
	v_add_co_u32_e32 v0, vcc, v44, v0
	v_fmac_f32_e32 v46, 0x3e9e377a, v65
	v_fmac_f32_e32 v45, 0x3e9e377a, v61
	v_addc_co_u32_e32 v1, vcc, v51, v1, vcc
	global_store_dwordx2 v[0:1], v[45:46], off
	v_lshlrev_b64 v[0:1], 3, v[2:3]
	v_mov_b32_e32 v2, v5
	v_mad_u64_u32 v[2:3], s[2:3], s21, v25, v[2:3]
	v_add_co_u32_e32 v0, vcc, v44, v0
	v_addc_co_u32_e32 v1, vcc, v51, v1, vcc
	v_mov_b32_e32 v5, v2
	global_store_dwordx2 v[0:1], v[54:55], off
	v_lshlrev_b64 v[0:1], 3, v[4:5]
	v_add_u32_e32 v4, 0x230, v8
	v_mad_u64_u32 v[2:3], s[2:3], s20, v4, 0
	v_add_u32_e32 v25, 0x348, v8
	v_add_co_u32_e32 v0, vcc, v44, v0
	v_mad_u64_u32 v[3:4], s[2:3], s21, v4, v[3:4]
	v_mad_u64_u32 v[4:5], s[2:3], s20, v25, 0
	v_fmac_f32_e32 v7, 0x3e9e377a, v74
	v_addc_co_u32_e32 v1, vcc, v51, v1, vcc
	global_store_dwordx2 v[0:1], v[6:7], off
	v_lshlrev_b64 v[0:1], 3, v[2:3]
	v_mov_b32_e32 v2, v5
	v_mad_u64_u32 v[2:3], s[2:3], s21, v25, v[2:3]
	v_add_co_u32_e32 v0, vcc, v44, v0
	v_fmac_f32_e32 v16, 0x3e9e377a, v71
	v_fmac_f32_e32 v15, 0x3e9e377a, v72
	v_addc_co_u32_e32 v1, vcc, v51, v1, vcc
	v_mov_b32_e32 v5, v2
	global_store_dwordx2 v[0:1], v[15:16], off
	v_lshlrev_b64 v[0:1], 3, v[4:5]
	v_add_u32_e32 v4, 0x460, v8
	v_mad_u64_u32 v[2:3], s[2:3], s20, v4, 0
	v_add_co_u32_e32 v0, vcc, v44, v0
	v_mad_u64_u32 v[3:4], s[2:3], s21, v4, v[3:4]
	v_add_u32_e32 v4, 0x70, v67
	v_lshrrev_b32_e32 v5, 3, v4
	v_mul_hi_u32 v5, v5, s0
	v_fmac_f32_e32 v20, 0x3e9e377a, v71
	v_fmac_f32_e32 v19, 0x3e9e377a, v72
	v_addc_co_u32_e32 v1, vcc, v51, v1, vcc
	global_store_dwordx2 v[0:1], v[19:20], off
	v_lshlrev_b64 v[0:1], 3, v[2:3]
	v_lshrrev_b32_e32 v2, 1, v5
	v_mul_u32_u24_e32 v3, 0x118, v2
	v_sub_u32_e32 v3, v4, v3
	v_mad_u32_u24 v6, v2, s1, v3
	v_mad_u64_u32 v[2:3], s[2:3], s20, v6, 0
	v_add_u32_e32 v7, 0x118, v6
	v_add_co_u32_e32 v0, vcc, v44, v0
	v_mad_u64_u32 v[3:4], s[2:3], s21, v6, v[3:4]
	v_mad_u64_u32 v[4:5], s[2:3], s20, v7, 0
	v_fmac_f32_e32 v12, 0x3e9e377a, v74
	v_addc_co_u32_e32 v1, vcc, v51, v1, vcc
	global_store_dwordx2 v[0:1], v[11:12], off
	v_lshlrev_b64 v[0:1], 3, v[2:3]
	v_mov_b32_e32 v2, v5
	v_mad_u64_u32 v[2:3], s[2:3], s21, v7, v[2:3]
	v_add_co_u32_e32 v0, vcc, v44, v0
	v_addc_co_u32_e32 v1, vcc, v51, v1, vcc
	v_mov_b32_e32 v5, v2
	global_store_dwordx2 v[0:1], v[62:63], off
	v_lshlrev_b64 v[0:1], 3, v[4:5]
	v_add_u32_e32 v4, 0x230, v6
	v_mad_u64_u32 v[2:3], s[2:3], s20, v4, 0
	v_add_u32_e32 v7, 0x348, v6
	v_add_co_u32_e32 v0, vcc, v44, v0
	v_mad_u64_u32 v[3:4], s[2:3], s21, v4, v[3:4]
	v_mad_u64_u32 v[4:5], s[2:3], s20, v7, 0
	v_addc_co_u32_e32 v1, vcc, v51, v1, vcc
	global_store_dwordx2 v[0:1], v[42:43], off
	v_lshlrev_b64 v[0:1], 3, v[2:3]
	v_mov_b32_e32 v2, v5
	v_mad_u64_u32 v[2:3], s[2:3], s21, v7, v[2:3]
	v_add_co_u32_e32 v0, vcc, v44, v0
	v_addc_co_u32_e32 v1, vcc, v51, v1, vcc
	v_mov_b32_e32 v5, v2
	global_store_dwordx2 v[0:1], v[52:53], off
	v_lshlrev_b64 v[0:1], 3, v[4:5]
	v_add_u32_e32 v4, 0x460, v6
	v_mad_u64_u32 v[2:3], s[2:3], s20, v4, 0
	v_add_co_u32_e32 v0, vcc, v44, v0
	v_mad_u64_u32 v[3:4], s[2:3], s21, v4, v[3:4]
	v_add_u32_e32 v4, 0xa8, v67
	v_lshrrev_b32_e32 v5, 3, v4
	v_mul_hi_u32 v5, v5, s0
	v_addc_co_u32_e32 v1, vcc, v51, v1, vcc
	global_store_dwordx2 v[0:1], v[40:41], off
	v_lshlrev_b64 v[0:1], 3, v[2:3]
	v_lshrrev_b32_e32 v2, 1, v5
	v_mul_u32_u24_e32 v3, 0x118, v2
	v_sub_u32_e32 v3, v4, v3
	v_mad_u32_u24 v6, v2, s1, v3
	v_mad_u64_u32 v[2:3], s[2:3], s20, v6, 0
	v_add_u32_e32 v7, 0x118, v6
	v_add_co_u32_e32 v0, vcc, v44, v0
	v_mad_u64_u32 v[3:4], s[2:3], s21, v6, v[3:4]
	v_mad_u64_u32 v[4:5], s[2:3], s20, v7, 0
	v_addc_co_u32_e32 v1, vcc, v51, v1, vcc
	global_store_dwordx2 v[0:1], v[38:39], off
	v_lshlrev_b64 v[0:1], 3, v[2:3]
	v_mov_b32_e32 v2, v5
	v_mad_u64_u32 v[2:3], s[2:3], s21, v7, v[2:3]
	v_add_co_u32_e32 v0, vcc, v44, v0
	v_addc_co_u32_e32 v1, vcc, v51, v1, vcc
	v_mov_b32_e32 v5, v2
	global_store_dwordx2 v[0:1], v[36:37], off
	v_lshlrev_b64 v[0:1], 3, v[4:5]
	v_add_u32_e32 v4, 0x230, v6
	v_mad_u64_u32 v[2:3], s[2:3], s20, v4, 0
	v_add_u32_e32 v7, 0x348, v6
	v_add_co_u32_e32 v0, vcc, v44, v0
	v_mad_u64_u32 v[3:4], s[2:3], s21, v4, v[3:4]
	v_mad_u64_u32 v[4:5], s[2:3], s20, v7, 0
	v_addc_co_u32_e32 v1, vcc, v51, v1, vcc
	global_store_dwordx2 v[0:1], v[34:35], off
	v_lshlrev_b64 v[0:1], 3, v[2:3]
	v_mov_b32_e32 v2, v5
	v_mad_u64_u32 v[2:3], s[2:3], s21, v7, v[2:3]
	v_add_co_u32_e32 v0, vcc, v44, v0
	v_addc_co_u32_e32 v1, vcc, v51, v1, vcc
	v_mov_b32_e32 v5, v2
	global_store_dwordx2 v[0:1], v[32:33], off
	v_lshlrev_b64 v[0:1], 3, v[4:5]
	v_add_u32_e32 v4, 0x460, v6
	v_add_u32_e32 v5, 0xe0, v67
	v_mad_u64_u32 v[2:3], s[2:3], s20, v4, 0
	v_lshrrev_b32_e32 v6, 3, v5
	v_mul_hi_u32 v6, v6, s0
	v_mad_u64_u32 v[3:4], s[2:3], s21, v4, v[3:4]
	v_add_co_u32_e32 v0, vcc, v44, v0
	v_lshrrev_b32_e32 v4, 1, v6
	v_mul_u32_u24_e32 v6, 0x118, v4
	v_sub_u32_e32 v5, v5, v6
	v_mad_u32_u24 v6, v4, s1, v5
	v_mad_u64_u32 v[4:5], s[0:1], s20, v6, 0
	v_addc_co_u32_e32 v1, vcc, v51, v1, vcc
	global_store_dwordx2 v[0:1], v[26:27], off
	v_lshlrev_b64 v[0:1], 3, v[2:3]
	v_mov_b32_e32 v2, v5
	v_mad_u64_u32 v[2:3], s[0:1], s21, v6, v[2:3]
	v_add_co_u32_e32 v0, vcc, v44, v0
	v_addc_co_u32_e32 v1, vcc, v51, v1, vcc
	v_mov_b32_e32 v5, v2
	global_store_dwordx2 v[0:1], v[30:31], off
	v_lshlrev_b64 v[0:1], 3, v[4:5]
	v_add_u32_e32 v4, 0x118, v6
	v_mad_u64_u32 v[2:3], s[0:1], s20, v4, 0
	v_add_u32_e32 v7, 0x230, v6
	v_add_co_u32_e32 v0, vcc, v44, v0
	v_mad_u64_u32 v[3:4], s[0:1], s21, v4, v[3:4]
	v_mad_u64_u32 v[4:5], s[0:1], s20, v7, 0
	v_addc_co_u32_e32 v1, vcc, v51, v1, vcc
	global_store_dwordx2 v[0:1], v[23:24], off
	v_lshlrev_b64 v[0:1], 3, v[2:3]
	v_mov_b32_e32 v2, v5
	v_mad_u64_u32 v[2:3], s[0:1], s21, v7, v[2:3]
	v_add_co_u32_e32 v0, vcc, v44, v0
	v_addc_co_u32_e32 v1, vcc, v51, v1, vcc
	v_mov_b32_e32 v5, v2
	global_store_dwordx2 v[0:1], v[21:22], off
	v_lshlrev_b64 v[0:1], 3, v[4:5]
	v_add_u32_e32 v4, 0x348, v6
	v_mad_u64_u32 v[2:3], s[0:1], s20, v4, 0
	v_add_u32_e32 v6, 0x460, v6
	v_add_co_u32_e32 v0, vcc, v44, v0
	v_mad_u64_u32 v[3:4], s[0:1], s21, v4, v[3:4]
	v_mad_u64_u32 v[4:5], s[0:1], s20, v6, 0
	v_addc_co_u32_e32 v1, vcc, v51, v1, vcc
	global_store_dwordx2 v[0:1], v[17:18], off
	v_lshlrev_b64 v[0:1], 3, v[2:3]
	v_mov_b32_e32 v2, v5
	v_mad_u64_u32 v[2:3], s[0:1], s21, v6, v[2:3]
	v_add_co_u32_e32 v0, vcc, v44, v0
	v_addc_co_u32_e32 v1, vcc, v51, v1, vcc
	v_mov_b32_e32 v5, v2
	global_store_dwordx2 v[0:1], v[13:14], off
	v_lshlrev_b64 v[0:1], 3, v[4:5]
	v_add_co_u32_e32 v0, vcc, v44, v0
	v_addc_co_u32_e32 v1, vcc, v51, v1, vcc
	global_store_dwordx2 v[0:1], v[9:10], off
.LBB0_45:
	s_endpgm
	.section	.rodata,"a",@progbits
	.p2align	6, 0x0
	.amdhsa_kernel fft_rtc_back_len1400_factors_2_2_2_5_7_5_wgs_56_tpt_56_halfLds_sp_op_CI_CI_sbrr_dirReg
		.amdhsa_group_segment_fixed_size 0
		.amdhsa_private_segment_fixed_size 0
		.amdhsa_kernarg_size 104
		.amdhsa_user_sgpr_count 6
		.amdhsa_user_sgpr_private_segment_buffer 1
		.amdhsa_user_sgpr_dispatch_ptr 0
		.amdhsa_user_sgpr_queue_ptr 0
		.amdhsa_user_sgpr_kernarg_segment_ptr 1
		.amdhsa_user_sgpr_dispatch_id 0
		.amdhsa_user_sgpr_flat_scratch_init 0
		.amdhsa_user_sgpr_private_segment_size 0
		.amdhsa_uses_dynamic_stack 0
		.amdhsa_system_sgpr_private_segment_wavefront_offset 0
		.amdhsa_system_sgpr_workgroup_id_x 1
		.amdhsa_system_sgpr_workgroup_id_y 0
		.amdhsa_system_sgpr_workgroup_id_z 0
		.amdhsa_system_sgpr_workgroup_info 0
		.amdhsa_system_vgpr_workitem_id 0
		.amdhsa_next_free_vgpr 118
		.amdhsa_next_free_sgpr 32
		.amdhsa_reserve_vcc 1
		.amdhsa_reserve_flat_scratch 0
		.amdhsa_float_round_mode_32 0
		.amdhsa_float_round_mode_16_64 0
		.amdhsa_float_denorm_mode_32 3
		.amdhsa_float_denorm_mode_16_64 3
		.amdhsa_dx10_clamp 1
		.amdhsa_ieee_mode 1
		.amdhsa_fp16_overflow 0
		.amdhsa_exception_fp_ieee_invalid_op 0
		.amdhsa_exception_fp_denorm_src 0
		.amdhsa_exception_fp_ieee_div_zero 0
		.amdhsa_exception_fp_ieee_overflow 0
		.amdhsa_exception_fp_ieee_underflow 0
		.amdhsa_exception_fp_ieee_inexact 0
		.amdhsa_exception_int_div_zero 0
	.end_amdhsa_kernel
	.text
.Lfunc_end0:
	.size	fft_rtc_back_len1400_factors_2_2_2_5_7_5_wgs_56_tpt_56_halfLds_sp_op_CI_CI_sbrr_dirReg, .Lfunc_end0-fft_rtc_back_len1400_factors_2_2_2_5_7_5_wgs_56_tpt_56_halfLds_sp_op_CI_CI_sbrr_dirReg
                                        ; -- End function
	.section	.AMDGPU.csdata,"",@progbits
; Kernel info:
; codeLenInByte = 17592
; NumSgprs: 36
; NumVgprs: 118
; ScratchSize: 0
; MemoryBound: 0
; FloatMode: 240
; IeeeMode: 1
; LDSByteSize: 0 bytes/workgroup (compile time only)
; SGPRBlocks: 4
; VGPRBlocks: 29
; NumSGPRsForWavesPerEU: 36
; NumVGPRsForWavesPerEU: 118
; Occupancy: 2
; WaveLimiterHint : 1
; COMPUTE_PGM_RSRC2:SCRATCH_EN: 0
; COMPUTE_PGM_RSRC2:USER_SGPR: 6
; COMPUTE_PGM_RSRC2:TRAP_HANDLER: 0
; COMPUTE_PGM_RSRC2:TGID_X_EN: 1
; COMPUTE_PGM_RSRC2:TGID_Y_EN: 0
; COMPUTE_PGM_RSRC2:TGID_Z_EN: 0
; COMPUTE_PGM_RSRC2:TIDIG_COMP_CNT: 0
	.type	__hip_cuid_1718fd3a7d034fc0,@object ; @__hip_cuid_1718fd3a7d034fc0
	.section	.bss,"aw",@nobits
	.globl	__hip_cuid_1718fd3a7d034fc0
__hip_cuid_1718fd3a7d034fc0:
	.byte	0                               ; 0x0
	.size	__hip_cuid_1718fd3a7d034fc0, 1

	.ident	"AMD clang version 19.0.0git (https://github.com/RadeonOpenCompute/llvm-project roc-6.4.0 25133 c7fe45cf4b819c5991fe208aaa96edf142730f1d)"
	.section	".note.GNU-stack","",@progbits
	.addrsig
	.addrsig_sym __hip_cuid_1718fd3a7d034fc0
	.amdgpu_metadata
---
amdhsa.kernels:
  - .args:
      - .actual_access:  read_only
        .address_space:  global
        .offset:         0
        .size:           8
        .value_kind:     global_buffer
      - .offset:         8
        .size:           8
        .value_kind:     by_value
      - .actual_access:  read_only
        .address_space:  global
        .offset:         16
        .size:           8
        .value_kind:     global_buffer
      - .actual_access:  read_only
        .address_space:  global
        .offset:         24
        .size:           8
        .value_kind:     global_buffer
      - .actual_access:  read_only
        .address_space:  global
        .offset:         32
        .size:           8
        .value_kind:     global_buffer
      - .offset:         40
        .size:           8
        .value_kind:     by_value
      - .actual_access:  read_only
        .address_space:  global
        .offset:         48
        .size:           8
        .value_kind:     global_buffer
      - .actual_access:  read_only
        .address_space:  global
        .offset:         56
        .size:           8
        .value_kind:     global_buffer
      - .offset:         64
        .size:           4
        .value_kind:     by_value
      - .actual_access:  read_only
        .address_space:  global
        .offset:         72
        .size:           8
        .value_kind:     global_buffer
      - .actual_access:  read_only
        .address_space:  global
        .offset:         80
        .size:           8
        .value_kind:     global_buffer
      - .actual_access:  read_only
        .address_space:  global
        .offset:         88
        .size:           8
        .value_kind:     global_buffer
      - .actual_access:  write_only
        .address_space:  global
        .offset:         96
        .size:           8
        .value_kind:     global_buffer
    .group_segment_fixed_size: 0
    .kernarg_segment_align: 8
    .kernarg_segment_size: 104
    .language:       OpenCL C
    .language_version:
      - 2
      - 0
    .max_flat_workgroup_size: 56
    .name:           fft_rtc_back_len1400_factors_2_2_2_5_7_5_wgs_56_tpt_56_halfLds_sp_op_CI_CI_sbrr_dirReg
    .private_segment_fixed_size: 0
    .sgpr_count:     36
    .sgpr_spill_count: 0
    .symbol:         fft_rtc_back_len1400_factors_2_2_2_5_7_5_wgs_56_tpt_56_halfLds_sp_op_CI_CI_sbrr_dirReg.kd
    .uniform_work_group_size: 1
    .uses_dynamic_stack: false
    .vgpr_count:     118
    .vgpr_spill_count: 0
    .wavefront_size: 64
amdhsa.target:   amdgcn-amd-amdhsa--gfx906
amdhsa.version:
  - 1
  - 2
...

	.end_amdgpu_metadata
